;; amdgpu-corpus repo=ROCm/rocFFT kind=compiled arch=gfx906 opt=O3
	.text
	.amdgcn_target "amdgcn-amd-amdhsa--gfx906"
	.amdhsa_code_object_version 6
	.protected	fft_rtc_back_len224_factors_2_2_2_4_7_wgs_196_tpt_14_dim3_sp_ip_CI_sbcc_twdbase8_3step_dirReg ; -- Begin function fft_rtc_back_len224_factors_2_2_2_4_7_wgs_196_tpt_14_dim3_sp_ip_CI_sbcc_twdbase8_3step_dirReg
	.globl	fft_rtc_back_len224_factors_2_2_2_4_7_wgs_196_tpt_14_dim3_sp_ip_CI_sbcc_twdbase8_3step_dirReg
	.p2align	8
	.type	fft_rtc_back_len224_factors_2_2_2_4_7_wgs_196_tpt_14_dim3_sp_ip_CI_sbcc_twdbase8_3step_dirReg,@function
fft_rtc_back_len224_factors_2_2_2_4_7_wgs_196_tpt_14_dim3_sp_ip_CI_sbcc_twdbase8_3step_dirReg: ; @fft_rtc_back_len224_factors_2_2_2_4_7_wgs_196_tpt_14_dim3_sp_ip_CI_sbcc_twdbase8_3step_dirReg
; %bb.0:
	s_load_dwordx4 s[0:3], s[4:5], 0x10
	s_mov_b32 s7, 0
	s_mov_b64 s[20:21], 0
	s_waitcnt lgkmcnt(0)
	s_load_dwordx2 s[10:11], s[0:1], 0x8
	s_waitcnt lgkmcnt(0)
	s_add_u32 s8, s10, -1
	s_addc_u32 s9, s11, -1
	s_add_u32 s12, 0, 0x49240800
	s_addc_u32 s13, 0, 50
	s_mul_hi_u32 s15, s12, -14
	s_add_i32 s13, s13, 0x12492460
	s_sub_i32 s15, s15, s12
	s_mul_i32 s18, s13, -14
	s_mul_i32 s14, s12, -14
	s_add_i32 s15, s15, s18
	s_mul_hi_u32 s16, s13, s14
	s_mul_i32 s17, s13, s14
	s_mul_i32 s19, s12, s15
	s_mul_hi_u32 s14, s12, s14
	s_mul_hi_u32 s18, s12, s15
	s_add_u32 s14, s14, s19
	s_addc_u32 s18, 0, s18
	s_add_u32 s14, s14, s17
	s_mul_hi_u32 s19, s13, s15
	s_addc_u32 s14, s18, s16
	s_addc_u32 s16, s19, 0
	s_mul_i32 s15, s13, s15
	s_add_u32 s14, s14, s15
	v_mov_b32_e32 v1, s14
	s_addc_u32 s15, 0, s16
	v_add_co_u32_e32 v1, vcc, s12, v1
	s_cmp_lg_u64 vcc, 0
	s_addc_u32 s12, s13, s15
	v_readfirstlane_b32 s15, v1
	s_mul_i32 s14, s8, s12
	s_mul_hi_u32 s16, s8, s15
	s_mul_hi_u32 s13, s8, s12
	s_add_u32 s14, s16, s14
	s_addc_u32 s13, 0, s13
	s_mul_hi_u32 s17, s9, s15
	s_mul_i32 s15, s9, s15
	s_add_u32 s14, s14, s15
	s_mul_hi_u32 s16, s9, s12
	s_addc_u32 s13, s13, s17
	s_addc_u32 s14, s16, 0
	s_mul_i32 s12, s9, s12
	s_add_u32 s12, s13, s12
	s_addc_u32 s13, 0, s14
	s_add_u32 s14, s12, 1
	s_addc_u32 s15, s13, 0
	s_add_u32 s16, s12, 2
	s_mul_i32 s18, s13, 14
	s_mul_hi_u32 s19, s12, 14
	s_addc_u32 s17, s13, 0
	s_add_i32 s19, s19, s18
	s_mul_i32 s18, s12, 14
	v_mov_b32_e32 v1, s18
	v_sub_co_u32_e32 v1, vcc, s8, v1
	s_cmp_lg_u64 vcc, 0
	s_subb_u32 s8, s9, s19
	v_subrev_co_u32_e32 v2, vcc, 14, v1
	s_cmp_lg_u64 vcc, 0
	s_subb_u32 s9, s8, 0
	v_readfirstlane_b32 s18, v2
	s_cmp_gt_u32 s18, 13
	s_cselect_b32 s18, -1, 0
	s_cmp_eq_u32 s9, 0
	s_cselect_b32 s9, s18, -1
	s_cmp_lg_u32 s9, 0
	s_cselect_b32 s9, s16, s14
	s_cselect_b32 s14, s17, s15
	v_readfirstlane_b32 s15, v1
	s_cmp_gt_u32 s15, 13
	s_cselect_b32 s15, -1, 0
	s_cmp_eq_u32 s8, 0
	s_cselect_b32 s8, s15, -1
	s_cmp_lg_u32 s8, 0
	s_cselect_b32 s9, s9, s12
	s_cselect_b32 s8, s14, s13
	s_add_u32 s18, s9, 1
	s_addc_u32 s19, s8, 0
	v_mov_b32_e32 v1, s18
	v_mov_b32_e32 v2, s19
	v_cmp_lt_u64_e32 vcc, s[6:7], v[1:2]
	s_cbranch_vccnz .LBB0_2
; %bb.1:
	v_cvt_f32_u32_e32 v1, s18
	s_sub_i32 s8, 0, s18
	s_mov_b32 s21, s7
	v_rcp_iflag_f32_e32 v1, v1
	v_mul_f32_e32 v1, 0x4f7ffffe, v1
	v_cvt_u32_f32_e32 v1, v1
	v_readfirstlane_b32 s9, v1
	s_mul_i32 s8, s8, s9
	s_mul_hi_u32 s8, s9, s8
	s_add_i32 s9, s9, s8
	s_mul_hi_u32 s8, s6, s9
	s_mul_i32 s12, s8, s18
	s_sub_i32 s12, s6, s12
	s_add_i32 s9, s8, 1
	s_sub_i32 s13, s12, s18
	s_cmp_ge_u32 s12, s18
	s_cselect_b32 s8, s9, s8
	s_cselect_b32 s12, s13, s12
	s_add_i32 s9, s8, 1
	s_cmp_ge_u32 s12, s18
	s_cselect_b32 s20, s9, s8
.LBB0_2:
	s_load_dwordx2 s[8:9], s[0:1], 0x10
	s_load_dwordx2 s[12:13], s[2:3], 0x8
	s_mov_b64 s[0:1], s[20:21]
	s_waitcnt lgkmcnt(0)
	v_mov_b32_e32 v1, s8
	v_mov_b32_e32 v2, s9
	v_cmp_lt_u64_e32 vcc, s[20:21], v[1:2]
	s_cbranch_vccnz .LBB0_4
; %bb.3:
	v_cvt_f32_u32_e32 v1, s8
	s_sub_i32 s0, 0, s8
	v_rcp_iflag_f32_e32 v1, v1
	v_mul_f32_e32 v1, 0x4f7ffffe, v1
	v_cvt_u32_f32_e32 v1, v1
	v_readfirstlane_b32 s1, v1
	s_mul_i32 s0, s0, s1
	s_mul_hi_u32 s0, s1, s0
	s_add_i32 s1, s1, s0
	s_mul_hi_u32 s0, s20, s1
	s_mul_i32 s0, s0, s8
	s_sub_i32 s0, s20, s0
	s_sub_i32 s1, s0, s8
	s_cmp_ge_u32 s0, s8
	s_cselect_b32 s0, s1, s0
	s_sub_i32 s1, s0, s8
	s_cmp_ge_u32 s0, s8
	s_cselect_b32 s0, s1, s0
.LBB0_4:
	s_mul_i32 s1, s8, s19
	s_mul_hi_u32 s16, s8, s18
	s_add_i32 s1, s16, s1
	s_mul_i32 s9, s9, s18
	s_mul_i32 s16, s8, s18
	s_load_dwordx2 s[14:15], s[4:5], 0x50
	s_add_i32 s17, s1, s9
	s_load_dwordx2 s[8:9], s[2:3], 0x0
	s_load_dwordx2 s[22:23], s[2:3], 0x10
	v_mov_b32_e32 v1, s16
	v_mov_b32_e32 v2, s17
	v_cmp_lt_u64_e32 vcc, s[6:7], v[1:2]
	s_mov_b64 s[24:25], 0
	s_cbranch_vccnz .LBB0_6
; %bb.5:
	v_cvt_f32_u32_e32 v1, s16
	s_sub_i32 s1, 0, s16
	v_rcp_iflag_f32_e32 v1, v1
	v_mul_f32_e32 v1, 0x4f7ffffe, v1
	v_cvt_u32_f32_e32 v1, v1
	v_readfirstlane_b32 s7, v1
	s_mul_i32 s1, s1, s7
	s_mul_hi_u32 s1, s7, s1
	s_add_i32 s7, s7, s1
	s_mul_hi_u32 s1, s6, s7
	s_mul_i32 s17, s1, s16
	s_sub_i32 s17, s6, s17
	s_add_i32 s7, s1, 1
	s_sub_i32 s21, s17, s16
	s_cmp_ge_u32 s17, s16
	s_cselect_b32 s1, s7, s1
	s_cselect_b32 s17, s21, s17
	s_add_i32 s7, s1, 1
	s_cmp_ge_u32 s17, s16
	s_cselect_b32 s24, s7, s1
.LBB0_6:
	s_mul_i32 s1, s20, s19
	s_mul_hi_u32 s7, s20, s18
	s_add_i32 s7, s7, s1
	s_mul_i32 s1, s20, s18
	s_sub_u32 s1, s6, s1
	s_subb_u32 s6, 0, s7
	s_mul_i32 s6, s6, 14
	s_mul_hi_u32 s7, s1, 14
	s_add_i32 s18, s7, s6
	s_mul_i32 s1, s1, 14
	s_load_dwordx2 s[2:3], s[2:3], 0x18
	s_mul_i32 s6, s12, s18
	s_mul_hi_u32 s7, s12, s1
	s_add_i32 s6, s7, s6
	s_mul_i32 s7, s13, s1
	s_waitcnt lgkmcnt(0)
	s_mul_i32 s19, s23, s0
	s_mul_hi_u32 s20, s22, s0
	s_add_i32 s6, s6, s7
	s_mul_i32 s7, s12, s1
	s_add_i32 s20, s20, s19
	s_mul_i32 s0, s22, s0
	s_add_u32 s0, s0, s7
	v_mul_u32_u24_e32 v1, 0x124a, v0
	s_addc_u32 s7, s20, s6
	s_mul_i32 s3, s3, s24
	s_mul_hi_u32 s6, s2, s24
	v_lshrrev_b32_e32 v102, 16, v1
	s_add_i32 s3, s6, s3
	s_mul_i32 s2, s2, s24
	v_mul_lo_u16_e32 v1, 14, v102
	s_add_u32 s6, s2, s0
	v_sub_u16_e32 v104, v0, v1
	s_addc_u32 s7, s3, s7
	v_mov_b32_e32 v1, s18
	v_add_co_u32_e32 v37, vcc, s1, v104
	s_load_dwordx2 s[16:17], s[4:5], 0x0
	v_addc_co_u32_e32 v38, vcc, 0, v1, vcc
	s_add_u32 s0, s1, 14
	v_mov_b32_e32 v1, s10
	s_addc_u32 s1, s18, 0
	v_mov_b32_e32 v2, s11
	v_cmp_gt_u64_e32 vcc, s[0:1], v[1:2]
	v_cmp_le_u64_e64 s[0:1], s[0:1], v[1:2]
	s_and_b64 vcc, exec, vcc
	v_add_u32_e32 v35, 14, v102
	v_add_u32_e32 v36, 28, v102
	v_add_u32_e32 v40, 42, v102
	v_add_u32_e32 v41, 56, v102
	s_cbranch_vccnz .LBB0_8
; %bb.7:
	v_mad_u64_u32 v[1:2], s[2:3], s12, v104, 0
	v_mad_u64_u32 v[3:4], s[2:3], s8, v102, 0
	v_add_u32_e32 v8, 0x70, v102
	v_add_u32_e32 v39, 14, v102
	v_mad_u64_u32 v[5:6], s[2:3], s13, v104, v[2:3]
	v_mov_b32_e32 v2, v4
	v_mad_u64_u32 v[6:7], s[2:3], s9, v102, v[2:3]
	s_lshl_b64 s[2:3], s[6:7], 3
	s_add_u32 s18, s14, s2
	s_addc_u32 s2, s15, s3
	v_mov_b32_e32 v2, v5
	v_mov_b32_e32 v4, v6
	v_mov_b32_e32 v7, s2
	v_mad_u64_u32 v[5:6], s[2:3], s8, v8, 0
	v_lshlrev_b64 v[1:2], 3, v[1:2]
	v_add_u32_e32 v103, 28, v102
	v_add_co_u32_e32 v9, vcc, s18, v1
	v_addc_co_u32_e32 v10, vcc, v7, v2, vcc
	v_lshlrev_b64 v[1:2], 3, v[3:4]
	v_mov_b32_e32 v3, v6
	v_mad_u64_u32 v[3:4], s[2:3], s9, v8, v[3:4]
	v_mad_u64_u32 v[7:8], s[2:3], s8, v39, 0
	v_add_co_u32_e32 v31, vcc, v9, v1
	v_mov_b32_e32 v6, v3
	v_mov_b32_e32 v3, v8
	v_addc_co_u32_e32 v32, vcc, v10, v2, vcc
	v_lshlrev_b64 v[1:2], 3, v[5:6]
	v_mad_u64_u32 v[3:4], s[2:3], s9, v39, v[3:4]
	v_add_u32_e32 v6, 0x7e, v102
	v_mad_u64_u32 v[4:5], s[2:3], s8, v6, 0
	v_mov_b32_e32 v8, v3
	v_add_co_u32_e32 v45, vcc, v9, v1
	v_mov_b32_e32 v3, v5
	v_mad_u64_u32 v[5:6], s[2:3], s9, v6, v[3:4]
	v_addc_co_u32_e32 v46, vcc, v10, v2, vcc
	v_lshlrev_b64 v[1:2], 3, v[7:8]
	v_mad_u64_u32 v[6:7], s[2:3], s8, v103, 0
	v_add_co_u32_e32 v47, vcc, v9, v1
	v_mov_b32_e32 v3, v7
	v_addc_co_u32_e32 v48, vcc, v10, v2, vcc
	v_lshlrev_b64 v[1:2], 3, v[4:5]
	v_mad_u64_u32 v[3:4], s[2:3], s9, v103, v[3:4]
	v_add_u32_e32 v8, 0x8c, v102
	v_mad_u64_u32 v[4:5], s[2:3], s8, v8, 0
	v_add_co_u32_e32 v49, vcc, v9, v1
	v_mov_b32_e32 v7, v3
	v_mov_b32_e32 v3, v5
	v_addc_co_u32_e32 v50, vcc, v10, v2, vcc
	v_lshlrev_b64 v[1:2], 3, v[6:7]
	v_mad_u64_u32 v[5:6], s[2:3], s9, v8, v[3:4]
	v_add_u32_e32 v33, 42, v102
	v_mad_u64_u32 v[6:7], s[2:3], s8, v33, 0
	v_add_co_u32_e32 v51, vcc, v9, v1
	v_mov_b32_e32 v3, v7
	v_addc_co_u32_e32 v52, vcc, v10, v2, vcc
	v_lshlrev_b64 v[1:2], 3, v[4:5]
	v_mad_u64_u32 v[3:4], s[2:3], s9, v33, v[3:4]
	v_add_u32_e32 v8, 0x9a, v102
	v_mad_u64_u32 v[4:5], s[2:3], s8, v8, 0
	v_add_co_u32_e32 v53, vcc, v9, v1
	v_mov_b32_e32 v7, v3
	v_mov_b32_e32 v3, v5
	v_addc_co_u32_e32 v54, vcc, v10, v2, vcc
	v_lshlrev_b64 v[1:2], 3, v[6:7]
	v_mad_u64_u32 v[5:6], s[2:3], s9, v8, v[3:4]
	v_add_u32_e32 v44, 56, v102
	v_mad_u64_u32 v[6:7], s[2:3], s8, v44, 0
	v_add_co_u32_e32 v55, vcc, v9, v1
	v_mov_b32_e32 v3, v7
	v_addc_co_u32_e32 v56, vcc, v10, v2, vcc
	v_lshlrev_b64 v[1:2], 3, v[4:5]
	v_mad_u64_u32 v[3:4], s[2:3], s9, v44, v[3:4]
	v_add_u32_e32 v8, 0xa8, v102
	v_mad_u64_u32 v[4:5], s[2:3], s8, v8, 0
	v_add_co_u32_e32 v57, vcc, v9, v1
	v_mov_b32_e32 v7, v3
	v_mov_b32_e32 v3, v5
	v_addc_co_u32_e32 v58, vcc, v10, v2, vcc
	v_lshlrev_b64 v[1:2], 3, v[6:7]
	v_mad_u64_u32 v[5:6], s[2:3], s9, v8, v[3:4]
	v_add_u32_e32 v34, 0x46, v102
	v_mad_u64_u32 v[6:7], s[2:3], s8, v34, 0
	v_add_co_u32_e32 v59, vcc, v9, v1
	v_mov_b32_e32 v3, v7
	v_addc_co_u32_e32 v60, vcc, v10, v2, vcc
	v_lshlrev_b64 v[1:2], 3, v[4:5]
	v_mad_u64_u32 v[3:4], s[2:3], s9, v34, v[3:4]
	v_add_u32_e32 v8, 0xb6, v102
	v_mad_u64_u32 v[4:5], s[2:3], s8, v8, 0
	v_add_co_u32_e32 v61, vcc, v9, v1
	v_mov_b32_e32 v7, v3
	v_mov_b32_e32 v3, v5
	v_addc_co_u32_e32 v62, vcc, v10, v2, vcc
	v_lshlrev_b64 v[1:2], 3, v[6:7]
	v_mad_u64_u32 v[5:6], s[2:3], s9, v8, v[3:4]
	v_add_u32_e32 v43, 0x54, v102
	v_mad_u64_u32 v[6:7], s[2:3], s8, v43, 0
	v_add_co_u32_e32 v63, vcc, v9, v1
	v_mov_b32_e32 v3, v7
	v_addc_co_u32_e32 v64, vcc, v10, v2, vcc
	v_lshlrev_b64 v[1:2], 3, v[4:5]
	v_mad_u64_u32 v[3:4], s[2:3], s9, v43, v[3:4]
	v_add_u32_e32 v8, 0xc4, v102
	v_mad_u64_u32 v[4:5], s[2:3], s8, v8, 0
	v_add_co_u32_e32 v65, vcc, v9, v1
	v_mov_b32_e32 v7, v3
	v_mov_b32_e32 v3, v5
	v_addc_co_u32_e32 v66, vcc, v10, v2, vcc
	v_lshlrev_b64 v[1:2], 3, v[6:7]
	v_mad_u64_u32 v[5:6], s[2:3], s9, v8, v[3:4]
	v_add_u32_e32 v42, 0x62, v102
	v_mad_u64_u32 v[6:7], s[2:3], s8, v42, 0
	v_add_co_u32_e32 v67, vcc, v9, v1
	v_mov_b32_e32 v3, v7
	v_addc_co_u32_e32 v68, vcc, v10, v2, vcc
	v_lshlrev_b64 v[1:2], 3, v[4:5]
	v_mad_u64_u32 v[3:4], s[2:3], s9, v42, v[3:4]
	v_add_u32_e32 v8, 0xd2, v102
	v_mad_u64_u32 v[4:5], s[2:3], s8, v8, 0
	v_add_co_u32_e32 v69, vcc, v9, v1
	v_mov_b32_e32 v7, v3
	v_mov_b32_e32 v3, v5
	v_addc_co_u32_e32 v70, vcc, v10, v2, vcc
	v_lshlrev_b64 v[1:2], 3, v[6:7]
	v_mad_u64_u32 v[5:6], s[2:3], s9, v8, v[3:4]
	v_add_co_u32_e32 v71, vcc, v9, v1
	v_addc_co_u32_e32 v72, vcc, v10, v2, vcc
	v_lshlrev_b64 v[1:2], 3, v[4:5]
	v_add_co_u32_e32 v73, vcc, v9, v1
	v_addc_co_u32_e32 v74, vcc, v10, v2, vcc
	global_load_dwordx2 v[5:6], v[31:32], off
	global_load_dwordx2 v[7:8], v[45:46], off
	;; [unrolled: 1-line block ×15, first 2 shown]
                                        ; kill: killed $vgpr65 killed $vgpr66
                                        ; kill: killed $vgpr51 killed $vgpr52
                                        ; kill: killed $vgpr67 killed $vgpr68
                                        ; kill: killed $vgpr45 killed $vgpr46
                                        ; kill: killed $vgpr61 killed $vgpr62
                                        ; kill: killed $vgpr47 killed $vgpr48
                                        ; kill: killed $vgpr63 killed $vgpr64
                                        ; kill: killed $vgpr57 killed $vgpr58
                                        ; kill: killed $vgpr31 killed $vgpr32
                                        ; kill: killed $vgpr59 killed $vgpr60
                                        ; kill: killed $vgpr53 killed $vgpr54
                                        ; kill: killed $vgpr69 killed $vgpr70
                                        ; kill: killed $vgpr55 killed $vgpr56
                                        ; kill: killed $vgpr71 killed $vgpr72
                                        ; kill: killed $vgpr49 killed $vgpr50
	global_load_dwordx2 v[31:32], v[73:74], off
	s_cbranch_execz .LBB0_9
	s_branch .LBB0_14
.LBB0_8:
                                        ; implicit-def: $vgpr1
                                        ; implicit-def: $vgpr31
                                        ; implicit-def: $vgpr25
                                        ; implicit-def: $vgpr29
                                        ; implicit-def: $vgpr27
                                        ; implicit-def: $vgpr19
                                        ; implicit-def: $vgpr17
                                        ; implicit-def: $vgpr103
                                        ; implicit-def: $vgpr33
                                        ; implicit-def: $vgpr44
                                        ; implicit-def: $vgpr34
                                        ; implicit-def: $vgpr43
                                        ; implicit-def: $vgpr42
                                        ; implicit-def: $vgpr23
                                        ; implicit-def: $vgpr21
                                        ; implicit-def: $vgpr11
                                        ; implicit-def: $vgpr9
                                        ; implicit-def: $vgpr15
                                        ; implicit-def: $vgpr13
                                        ; implicit-def: $vgpr3
                                        ; implicit-def: $vgpr7
                                        ; implicit-def: $vgpr5
                                        ; implicit-def: $vgpr39
.LBB0_9:
	v_cmp_le_u64_e32 vcc, s[10:11], v[37:38]
                                        ; implicit-def: $vgpr39
                                        ; implicit-def: $vgpr103
                                        ; implicit-def: $vgpr33
                                        ; implicit-def: $vgpr44
                                        ; implicit-def: $vgpr34
                                        ; implicit-def: $vgpr43
                                        ; implicit-def: $vgpr42
	s_and_saveexec_b64 s[2:3], vcc
	s_xor_b64 s[2:3], exec, s[2:3]
; %bb.10:
	v_add_u32_e32 v39, 14, v102
	v_add_u32_e32 v103, 28, v102
	;; [unrolled: 1-line block ×7, first 2 shown]
                                        ; implicit-def: $vgpr35
                                        ; implicit-def: $vgpr36
                                        ; implicit-def: $vgpr40
                                        ; implicit-def: $vgpr41
; %bb.11:
	s_or_saveexec_b64 s[2:3], s[2:3]
                                        ; implicit-def: $vgpr1
                                        ; implicit-def: $vgpr31
                                        ; implicit-def: $vgpr25
                                        ; implicit-def: $vgpr29
                                        ; implicit-def: $vgpr27
                                        ; implicit-def: $vgpr19
                                        ; implicit-def: $vgpr17
                                        ; implicit-def: $vgpr23
                                        ; implicit-def: $vgpr21
                                        ; implicit-def: $vgpr11
                                        ; implicit-def: $vgpr9
                                        ; implicit-def: $vgpr15
                                        ; implicit-def: $vgpr13
                                        ; implicit-def: $vgpr3
                                        ; implicit-def: $vgpr7
                                        ; implicit-def: $vgpr5
	s_xor_b64 exec, exec, s[2:3]
	s_cbranch_execz .LBB0_13
; %bb.12:
	s_waitcnt vmcnt(12)
	v_mad_u64_u32 v[1:2], s[18:19], s12, v104, 0
	v_mad_u64_u32 v[3:4], s[18:19], s8, v102, 0
	v_add_u32_e32 v8, 0x70, v102
	s_waitcnt vmcnt(7)
	v_add_u32_e32 v22, 0x8c, v102
	v_mad_u64_u32 v[5:6], s[18:19], s13, v104, v[2:3]
	v_mov_b32_e32 v2, v4
	v_mad_u64_u32 v[6:7], s[18:19], s9, v102, v[2:3]
	s_lshl_b64 s[18:19], s[6:7], 3
	s_add_u32 s20, s14, s18
	s_addc_u32 s18, s15, s19
	v_mov_b32_e32 v2, v5
	v_mov_b32_e32 v4, v6
	v_mov_b32_e32 v7, s18
	v_mad_u64_u32 v[5:6], s[18:19], s8, v8, 0
	v_lshlrev_b64 v[1:2], 3, v[1:2]
	v_mad_u64_u32 v[15:16], s[18:19], s8, v36, 0
	v_add_co_u32_e32 v39, vcc, s20, v1
	v_addc_co_u32_e32 v51, vcc, v7, v2, vcc
	v_lshlrev_b64 v[1:2], 3, v[3:4]
	v_mov_b32_e32 v3, v6
	v_mad_u64_u32 v[3:4], s[18:19], s9, v8, v[3:4]
	v_mad_u64_u32 v[7:8], s[18:19], s8, v35, 0
	v_add_co_u32_e32 v9, vcc, v39, v1
	v_mov_b32_e32 v6, v3
	v_mov_b32_e32 v3, v8
	v_addc_co_u32_e32 v10, vcc, v51, v2, vcc
	v_lshlrev_b64 v[1:2], 3, v[5:6]
	v_mad_u64_u32 v[3:4], s[18:19], s9, v35, v[3:4]
	v_add_u32_e32 v6, 0x7e, v102
	v_mad_u64_u32 v[4:5], s[18:19], s8, v6, 0
	v_mov_b32_e32 v8, v3
	v_add_co_u32_e32 v11, vcc, v39, v1
	v_mov_b32_e32 v3, v5
	v_mad_u64_u32 v[5:6], s[18:19], s9, v6, v[3:4]
	v_addc_co_u32_e32 v12, vcc, v51, v2, vcc
	v_lshlrev_b64 v[1:2], 3, v[7:8]
	s_waitcnt vmcnt(6)
	v_mad_u64_u32 v[23:24], s[18:19], s8, v41, 0
	v_add_co_u32_e32 v13, vcc, v39, v1
	v_addc_co_u32_e32 v14, vcc, v51, v2, vcc
	v_lshlrev_b64 v[1:2], 3, v[4:5]
	s_waitcnt vmcnt(2)
	v_add_u32_e32 v30, 0xa8, v102
	v_add_co_u32_e32 v17, vcc, v39, v1
	v_mov_b32_e32 v1, v16
	v_mad_u64_u32 v[19:20], s[18:19], s9, v36, v[1:2]
	v_mad_u64_u32 v[20:21], s[18:19], s8, v22, 0
	v_addc_co_u32_e32 v18, vcc, v51, v2, vcc
	global_load_dwordx2 v[5:6], v[9:10], off
	global_load_dwordx2 v[7:8], v[11:12], off
	;; [unrolled: 1-line block ×4, first 2 shown]
	v_mov_b32_e32 v11, v21
	v_mad_u64_u32 v[11:12], s[18:19], s9, v22, v[11:12]
	v_mad_u64_u32 v[12:13], s[18:19], s8, v40, 0
	v_mov_b32_e32 v16, v19
	v_mov_b32_e32 v21, v11
	;; [unrolled: 1-line block ×3, first 2 shown]
	v_lshlrev_b64 v[9:10], 3, v[15:16]
	v_mad_u64_u32 v[13:14], s[18:19], s9, v40, v[11:12]
	v_add_u32_e32 v16, 0x9a, v102
	v_mad_u64_u32 v[14:15], s[18:19], s8, v16, 0
	v_add_co_u32_e32 v17, vcc, v39, v9
	v_addc_co_u32_e32 v18, vcc, v51, v10, vcc
	v_lshlrev_b64 v[9:10], 3, v[20:21]
	v_mov_b32_e32 v11, v15
	v_add_co_u32_e32 v19, vcc, v39, v9
	v_addc_co_u32_e32 v20, vcc, v51, v10, vcc
	v_lshlrev_b64 v[9:10], 3, v[12:13]
	v_mad_u64_u32 v[11:12], s[18:19], s9, v16, v[11:12]
	v_add_co_u32_e32 v21, vcc, v39, v9
	v_mov_b32_e32 v15, v11
	v_addc_co_u32_e32 v22, vcc, v51, v10, vcc
	v_lshlrev_b64 v[9:10], 3, v[14:15]
	v_add_u32_e32 v34, 0x46, v102
	s_waitcnt vmcnt(5)
	v_add_co_u32_e32 v25, vcc, v39, v9
	v_mov_b32_e32 v9, v24
	v_mad_u64_u32 v[27:28], s[18:19], s9, v41, v[9:10]
	v_mad_u64_u32 v[28:29], s[18:19], s8, v30, 0
	v_addc_co_u32_e32 v26, vcc, v51, v10, vcc
	global_load_dwordx2 v[13:14], v[17:18], off
	global_load_dwordx2 v[15:16], v[19:20], off
	;; [unrolled: 1-line block ×4, first 2 shown]
	v_mov_b32_e32 v19, v29
	v_mad_u64_u32 v[19:20], s[18:19], s9, v30, v[19:20]
	v_mad_u64_u32 v[20:21], s[18:19], s8, v34, 0
	v_mov_b32_e32 v24, v27
	v_mov_b32_e32 v29, v19
	;; [unrolled: 1-line block ×3, first 2 shown]
	v_lshlrev_b64 v[17:18], 3, v[23:24]
	v_mad_u64_u32 v[21:22], s[18:19], s9, v34, v[19:20]
	v_add_u32_e32 v24, 0xb6, v102
	v_mad_u64_u32 v[22:23], s[18:19], s8, v24, 0
	v_add_co_u32_e32 v25, vcc, v39, v17
	v_addc_co_u32_e32 v26, vcc, v51, v18, vcc
	v_lshlrev_b64 v[17:18], 3, v[28:29]
	v_mov_b32_e32 v19, v23
	v_add_co_u32_e32 v27, vcc, v39, v17
	v_addc_co_u32_e32 v28, vcc, v51, v18, vcc
	v_lshlrev_b64 v[17:18], 3, v[20:21]
	v_mad_u64_u32 v[19:20], s[18:19], s9, v24, v[19:20]
	v_add_u32_e32 v43, 0x54, v102
	s_waitcnt vmcnt(8)
	v_mad_u64_u32 v[31:32], s[18:19], s8, v43, 0
	v_add_co_u32_e32 v29, vcc, v39, v17
	v_mov_b32_e32 v23, v19
	v_addc_co_u32_e32 v30, vcc, v51, v18, vcc
	v_lshlrev_b64 v[17:18], 3, v[22:23]
	v_add_u32_e32 v42, 0x62, v102
	v_add_co_u32_e32 v44, vcc, v39, v17
	v_mov_b32_e32 v17, v32
	v_mad_u64_u32 v[32:33], s[18:19], s9, v43, v[17:18]
	v_add_u32_e32 v33, 0xc4, v102
	v_mad_u64_u32 v[46:47], s[18:19], s8, v33, 0
	v_addc_co_u32_e32 v45, vcc, v51, v18, vcc
	global_load_dwordx2 v[21:22], v[25:26], off
	global_load_dwordx2 v[23:24], v[27:28], off
	;; [unrolled: 1-line block ×4, first 2 shown]
	v_mov_b32_e32 v27, v47
	v_mad_u64_u32 v[27:28], s[18:19], s9, v33, v[27:28]
	v_mad_u64_u32 v[28:29], s[18:19], s8, v42, 0
	v_mov_b32_e32 v47, v27
	v_lshlrev_b64 v[25:26], 3, v[31:32]
	v_mov_b32_e32 v27, v29
	v_mad_u64_u32 v[29:30], s[18:19], s9, v42, v[27:28]
	v_add_u32_e32 v32, 0xd2, v102
	v_mad_u64_u32 v[30:31], s[18:19], s8, v32, 0
	v_add_co_u32_e32 v44, vcc, v39, v25
	v_addc_co_u32_e32 v45, vcc, v51, v26, vcc
	v_lshlrev_b64 v[25:26], 3, v[46:47]
	v_mov_b32_e32 v27, v31
	v_add_co_u32_e32 v46, vcc, v39, v25
	v_addc_co_u32_e32 v47, vcc, v51, v26, vcc
	v_lshlrev_b64 v[25:26], 3, v[28:29]
	v_mad_u64_u32 v[27:28], s[18:19], s9, v32, v[27:28]
	v_add_co_u32_e32 v48, vcc, v39, v25
	v_mov_b32_e32 v31, v27
	v_addc_co_u32_e32 v49, vcc, v51, v26, vcc
	v_lshlrev_b64 v[25:26], 3, v[30:31]
	v_mov_b32_e32 v103, v36
	v_add_co_u32_e32 v50, vcc, v39, v25
	v_addc_co_u32_e32 v51, vcc, v51, v26, vcc
	global_load_dwordx2 v[27:28], v[44:45], off
	global_load_dwordx2 v[29:30], v[46:47], off
	;; [unrolled: 1-line block ×4, first 2 shown]
	v_mov_b32_e32 v39, v35
	v_mov_b32_e32 v33, v40
	;; [unrolled: 1-line block ×3, first 2 shown]
.LBB0_13:
	s_or_b64 exec, exec, s[2:3]
.LBB0_14:
	s_waitcnt vmcnt(12)
	v_sub_f32_e32 v1, v3, v1
	v_sub_f32_e32 v2, v4, v2
	v_sub_f32_e32 v7, v5, v7
	v_sub_f32_e32 v8, v6, v8
	v_fma_f32 v35, v3, 2.0, -v1
	v_fma_f32 v36, v4, 2.0, -v2
	v_mul_u32_u24_e32 v4, 0xe0, v102
	v_lshlrev_b32_e32 v3, 3, v104
	v_fma_f32 v5, v5, 2.0, -v7
	v_fma_f32 v6, v6, 2.0, -v8
	v_add3_u32 v4, 0, v4, v3
	ds_write2_b64 v4, v[5:6], v[7:8] offset1:14
	v_mul_i32_i24_e32 v4, 0xe0, v39
	v_add3_u32 v4, 0, v4, v3
	s_waitcnt vmcnt(10)
	v_sub_f32_e32 v15, v13, v15
	v_sub_f32_e32 v16, v14, v16
	ds_write2_b64 v4, v[35:36], v[1:2] offset1:14
	v_mul_i32_i24_e32 v1, 0xe0, v103
	v_fma_f32 v13, v13, 2.0, -v15
	v_fma_f32 v14, v14, 2.0, -v16
	v_add3_u32 v1, 0, v1, v3
	s_waitcnt vmcnt(8)
	v_sub_f32_e32 v11, v9, v11
	v_sub_f32_e32 v12, v10, v12
	ds_write2_b64 v1, v[13:14], v[15:16] offset1:14
	v_mul_i32_i24_e32 v1, 0xe0, v33
	v_fma_f32 v9, v9, 2.0, -v11
	v_fma_f32 v10, v10, 2.0, -v12
	;; [unrolled: 8-line block ×6, first 2 shown]
	v_add3_u32 v1, 0, v1, v3
	v_and_b32_e32 v47, 1, v102
	ds_write2_b64 v1, v[25:26], v[31:32] offset1:14
	v_lshlrev_b32_e32 v1, 3, v47
	s_waitcnt lgkmcnt(0)
	s_barrier
	global_load_dwordx2 v[19:20], v1, s[16:17]
	v_mul_u32_u24_e32 v1, 0x70, v102
	v_add3_u32 v4, 0, v1, v3
	v_add_u32_e32 v48, 0x3000, v4
	ds_read2_b64 v[7:10], v48 offset0:32 offset1:228
	v_add_u32_e32 v49, 0x3c00, v4
	ds_read2_b64 v[11:14], v49 offset0:40 offset1:236
	;; [unrolled: 2-line block ×3, first 2 shown]
	v_mul_i32_i24_e32 v1, 0x70, v39
	v_add3_u32 v6, 0, v1, v3
	v_mul_i32_i24_e32 v1, 0x70, v103
	v_add3_u32 v5, 0, v1, v3
	v_mul_i32_i24_e32 v1, 0x70, v33
	v_mul_i32_i24_e32 v23, 0x70, v34
	v_add3_u32 v1, 0, v1, v3
	v_mul_i32_i24_e32 v2, 0x70, v44
	v_add3_u32 v51, 0, v23, v3
	v_mul_i32_i24_e32 v23, 0x70, v43
	ds_read_b64 v[21:22], v4
	v_add3_u32 v2, 0, v2, v3
	v_add3_u32 v52, 0, v23, v3
	ds_read_b64 v[23:24], v1
	ds_read_b64 v[25:26], v2
	;; [unrolled: 1-line block ×6, first 2 shown]
	ds_read_b64 v[40:41], v4 offset:21952
	v_mul_i32_i24_e32 v45, 0x70, v42
	v_add3_u32 v53, 0, v45, v3
	ds_read_b64 v[45:46], v53
	s_movk_i32 s2, 0x7ffc
	v_lshlrev_b32_e32 v44, 1, v44
	s_waitcnt vmcnt(0) lgkmcnt(11)
	v_mul_f32_e32 v54, v20, v8
	v_fmac_f32_e32 v54, v19, v7
	v_mul_f32_e32 v7, v20, v7
	v_fma_f32 v55, v19, v8, -v7
	v_mul_f32_e32 v7, v20, v9
	v_fma_f32 v57, v19, v10, -v7
	s_waitcnt lgkmcnt(10)
	v_mul_f32_e32 v7, v20, v11
	v_fma_f32 v59, v19, v12, -v7
	v_mul_f32_e32 v7, v20, v13
	v_fma_f32 v61, v19, v14, -v7
	s_waitcnt lgkmcnt(9)
	v_mul_f32_e32 v7, v20, v15
	v_fma_f32 v63, v19, v16, -v7
	v_mul_f32_e32 v7, v20, v17
	v_fma_f32 v65, v19, v18, -v7
	v_add_u32_e32 v7, 0x5800, v4
	ds_read2_b32 v[7:8], v7 offset0:248 offset1:249
	v_mul_f32_e32 v56, v20, v10
	v_fmac_f32_e32 v56, v19, v9
	s_waitcnt lgkmcnt(2)
	v_mul_f32_e32 v66, v20, v41
	v_mul_f32_e32 v9, v20, v40
	v_fmac_f32_e32 v66, v19, v40
	v_fma_f32 v40, v19, v41, -v9
	s_waitcnt lgkmcnt(0)
	v_mul_f32_e32 v41, v8, v20
	v_fmac_f32_e32 v41, v19, v7
	v_mul_f32_e32 v7, v20, v7
	v_fma_f32 v67, v8, v19, -v7
	v_sub_f32_e32 v7, v21, v54
	v_lshlrev_b32_e32 v54, 1, v102
	v_sub_f32_e32 v8, v22, v55
	v_and_or_b32 v55, v54, 60, v47
	v_mul_u32_u24_e32 v55, 0x70, v55
	v_fma_f32 v9, v21, 2.0, -v7
	v_fma_f32 v10, v22, 2.0, -v8
	v_add3_u32 v55, 0, v55, v3
	s_barrier
	ds_write2_b64 v55, v[9:10], v[7:8] offset1:28
	v_lshlrev_b32_e32 v55, 1, v39
	v_mul_f32_e32 v58, v20, v12
	v_and_or_b32 v7, v55, s2, v47
	v_fmac_f32_e32 v58, v19, v11
	v_mul_f32_e32 v60, v20, v14
	v_sub_f32_e32 v11, v31, v56
	v_sub_f32_e32 v12, v32, v57
	v_mul_u32_u24_e32 v7, 0x70, v7
	v_fmac_f32_e32 v60, v19, v13
	v_fma_f32 v13, v31, 2.0, -v11
	v_fma_f32 v14, v32, 2.0, -v12
	v_add3_u32 v7, 0, v7, v3
	v_lshlrev_b32_e32 v56, 1, v103
	v_mul_f32_e32 v62, v20, v16
	ds_write2_b64 v7, v[13:14], v[11:12] offset1:28
	v_and_or_b32 v7, v56, s2, v47
	v_fmac_f32_e32 v62, v19, v15
	v_mul_f32_e32 v64, v20, v18
	v_sub_f32_e32 v15, v35, v58
	v_sub_f32_e32 v16, v36, v59
	v_mul_u32_u24_e32 v7, 0x70, v7
	v_fmac_f32_e32 v64, v19, v17
	v_fma_f32 v17, v35, 2.0, -v15
	v_fma_f32 v18, v36, 2.0, -v16
	v_add3_u32 v7, 0, v7, v3
	v_lshlrev_b32_e32 v57, 1, v33
	ds_write2_b64 v7, v[17:18], v[15:16] offset1:28
	v_and_or_b32 v7, v57, s2, v47
	v_sub_f32_e32 v19, v23, v60
	v_sub_f32_e32 v20, v24, v61
	v_mul_u32_u24_e32 v7, 0x70, v7
	v_fma_f32 v21, v23, 2.0, -v19
	v_fma_f32 v22, v24, 2.0, -v20
	v_add3_u32 v7, 0, v7, v3
	ds_write2_b64 v7, v[21:22], v[19:20] offset1:28
	v_and_or_b32 v7, v44, s2, v47
	v_sub_f32_e32 v23, v25, v62
	v_sub_f32_e32 v24, v26, v63
	v_mul_u32_u24_e32 v7, 0x70, v7
	v_fma_f32 v25, v25, 2.0, -v23
	v_fma_f32 v26, v26, 2.0, -v24
	v_add3_u32 v7, 0, v7, v3
	v_lshlrev_b32_e32 v58, 1, v34
	ds_write2_b64 v7, v[25:26], v[23:24] offset1:28
	v_and_or_b32 v7, v58, s2, v47
	v_sub_f32_e32 v31, v27, v64
	v_sub_f32_e32 v32, v28, v65
	v_mul_u32_u24_e32 v7, 0x70, v7
	v_fma_f32 v27, v27, 2.0, -v31
	v_fma_f32 v28, v28, 2.0, -v32
	v_add3_u32 v7, 0, v7, v3
	v_lshlrev_b32_e32 v59, 1, v43
	ds_write2_b64 v7, v[27:28], v[31:32] offset1:28
	v_and_or_b32 v7, v59, s2, v47
	v_sub_f32_e32 v35, v29, v66
	v_sub_f32_e32 v36, v30, v40
	v_mul_u32_u24_e32 v7, 0x70, v7
	v_fma_f32 v29, v29, 2.0, -v35
	v_fma_f32 v30, v30, 2.0, -v36
	v_add3_u32 v7, 0, v7, v3
	ds_write2_b64 v7, v[29:30], v[35:36] offset1:28
	v_lshlrev_b32_e32 v36, 1, v42
	v_and_or_b32 v7, v36, s2, v47
	v_sub_f32_e32 v40, v45, v41
	v_sub_f32_e32 v41, v46, v67
	v_mul_u32_u24_e32 v7, 0x70, v7
	v_fma_f32 v45, v45, 2.0, -v40
	v_fma_f32 v46, v46, 2.0, -v41
	v_add3_u32 v7, 0, v7, v3
	ds_write2_b64 v7, v[45:46], v[40:41] offset1:28
	v_and_b32_e32 v45, 3, v102
	v_lshlrev_b32_e32 v7, 3, v45
	s_waitcnt lgkmcnt(0)
	s_barrier
	global_load_dwordx2 v[19:20], v7, s[16:17] offset:16
	v_and_b32_e32 v46, 3, v39
	v_lshlrev_b32_e32 v7, 3, v46
	global_load_dwordx2 v[21:22], v7, s[16:17] offset:16
	v_and_b32_e32 v47, 3, v33
	v_lshlrev_b32_e32 v7, 3, v47
	v_and_b32_e32 v60, 3, v34
	global_load_dwordx2 v[23:24], v7, s[16:17] offset:16
	v_lshlrev_b32_e32 v7, 3, v60
	global_load_dwordx2 v[25:26], v7, s[16:17] offset:16
	v_and_b32_e32 v61, 3, v42
	v_lshlrev_b32_e32 v7, 3, v61
	global_load_dwordx2 v[27:28], v7, s[16:17] offset:16
	ds_read2_b64 v[7:10], v48 offset0:32 offset1:228
	ds_read_b64 v[29:30], v4
	ds_read2_b64 v[11:14], v49 offset0:40 offset1:236
	ds_read2_b64 v[15:18], v50 offset0:48 offset1:244
	v_add_u32_e32 v31, 0x5400, v4
	s_movk_i32 s2, 0x7ff8
	s_waitcnt vmcnt(4) lgkmcnt(3)
	v_mul_f32_e32 v32, v20, v8
	v_fmac_f32_e32 v32, v19, v7
	v_mul_f32_e32 v7, v20, v7
	v_fma_f32 v34, v19, v8, -v7
	s_waitcnt vmcnt(3)
	v_mul_f32_e32 v35, v22, v10
	v_mul_f32_e32 v7, v22, v9
	v_fmac_f32_e32 v35, v21, v9
	v_fma_f32 v40, v21, v10, -v7
	ds_read2_b64 v[7:10], v31 offset0:56 offset1:252
	s_waitcnt lgkmcnt(2)
	v_mul_f32_e32 v31, v20, v12
	v_fmac_f32_e32 v31, v19, v11
	v_mul_f32_e32 v11, v20, v11
	s_waitcnt vmcnt(2)
	v_mul_f32_e32 v41, v24, v14
	v_fma_f32 v43, v19, v12, -v11
	s_waitcnt lgkmcnt(1)
	v_mul_f32_e32 v11, v20, v15
	v_fmac_f32_e32 v41, v23, v13
	v_mul_f32_e32 v13, v24, v13
	v_mul_f32_e32 v48, v20, v16
	v_fma_f32 v49, v19, v16, -v11
	s_waitcnt vmcnt(1)
	v_mul_f32_e32 v11, v17, v26
	v_fma_f32 v42, v23, v14, -v13
	v_fmac_f32_e32 v48, v19, v15
	v_fma_f32 v62, v18, v25, -v11
	ds_read_b64 v[11:12], v1
	ds_read_b64 v[13:14], v6
	;; [unrolled: 1-line block ×3, first 2 shown]
	s_waitcnt lgkmcnt(3)
	v_mul_f32_e32 v63, v8, v20
	v_fmac_f32_e32 v63, v7, v19
	v_mul_f32_e32 v7, v7, v20
	v_mul_f32_e32 v50, v18, v26
	v_fma_f32 v64, v8, v19, -v7
	s_waitcnt vmcnt(0)
	v_mul_f32_e32 v65, v10, v28
	v_mul_f32_e32 v7, v9, v28
	v_fmac_f32_e32 v50, v17, v25
	v_fmac_f32_e32 v65, v9, v27
	v_fma_f32 v66, v10, v27, -v7
	ds_read_b64 v[7:8], v2
	ds_read_b64 v[9:10], v51
	;; [unrolled: 1-line block ×4, first 2 shown]
	s_waitcnt lgkmcnt(4)
	v_sub_f32_e32 v27, v15, v31
	s_waitcnt lgkmcnt(3)
	v_sub_f32_e32 v31, v7, v48
	v_and_or_b32 v48, v54, 56, v45
	v_sub_f32_e32 v21, v29, v32
	v_sub_f32_e32 v22, v30, v34
	v_mul_u32_u24_e32 v48, 0x70, v48
	v_fma_f32 v23, v29, 2.0, -v21
	v_fma_f32 v24, v30, 2.0, -v22
	v_add3_u32 v48, 0, v48, v3
	s_waitcnt lgkmcnt(0)
	s_barrier
	ds_write2_b64 v48, v[23:24], v[21:22] offset1:56
	v_and_or_b32 v21, v55, s2, v46
	v_sub_f32_e32 v25, v13, v35
	v_sub_f32_e32 v26, v14, v40
	v_mul_u32_u24_e32 v21, 0x70, v21
	v_fma_f32 v13, v13, 2.0, -v25
	v_fma_f32 v14, v14, 2.0, -v26
	v_add3_u32 v21, 0, v21, v3
	ds_write2_b64 v21, v[13:14], v[25:26] offset1:56
	v_and_or_b32 v13, v56, s2, v45
	v_sub_f32_e32 v28, v16, v43
	v_mul_u32_u24_e32 v13, 0x70, v13
	v_fma_f32 v15, v15, 2.0, -v27
	v_fma_f32 v16, v16, 2.0, -v28
	v_add3_u32 v13, 0, v13, v3
	ds_write2_b64 v13, v[15:16], v[27:28] offset1:56
	v_and_or_b32 v13, v57, s2, v47
	v_sub_f32_e32 v29, v11, v41
	v_sub_f32_e32 v30, v12, v42
	v_mul_u32_u24_e32 v13, 0x70, v13
	v_fma_f32 v11, v11, 2.0, -v29
	v_fma_f32 v12, v12, 2.0, -v30
	v_add3_u32 v13, 0, v13, v3
	ds_write2_b64 v13, v[11:12], v[29:30] offset1:56
	v_and_or_b32 v11, v44, s2, v45
	v_sub_f32_e32 v32, v8, v49
	v_mul_u32_u24_e32 v11, 0x70, v11
	v_fma_f32 v7, v7, 2.0, -v31
	v_fma_f32 v8, v8, 2.0, -v32
	v_add3_u32 v11, 0, v11, v3
	ds_write2_b64 v11, v[7:8], v[31:32] offset1:56
	v_and_or_b32 v7, v58, s2, v60
	v_sub_f32_e32 v34, v9, v50
	v_sub_f32_e32 v35, v10, v62
	v_mul_u32_u24_e32 v7, 0x70, v7
	v_fma_f32 v9, v9, 2.0, -v34
	v_fma_f32 v10, v10, 2.0, -v35
	v_add3_u32 v7, 0, v7, v3
	ds_write2_b64 v7, v[9:10], v[34:35] offset1:56
	v_and_or_b32 v7, v59, s2, v45
	v_sub_f32_e32 v40, v17, v63
	;; [unrolled: 8-line block ×3, first 2 shown]
	v_sub_f32_e32 v43, v20, v66
	v_mul_u32_u24_e32 v7, 0x70, v7
	v_fma_f32 v19, v19, 2.0, -v42
	v_fma_f32 v20, v20, 2.0, -v43
	v_add3_u32 v7, 0, v7, v3
	v_and_b32_e32 v36, 7, v39
	ds_write2_b64 v7, v[19:20], v[42:43] offset1:56
	v_mul_u32_u24_e32 v7, 3, v36
	v_lshlrev_b32_e32 v19, 3, v7
	v_and_b32_e32 v50, 7, v103
	s_waitcnt lgkmcnt(0)
	s_barrier
	global_load_dwordx4 v[7:10], v19, s[16:17] offset:48
	v_mul_u32_u24_e32 v11, 3, v50
	v_lshlrev_b32_e32 v20, 3, v11
	global_load_dwordx4 v[11:14], v20, s[16:17] offset:48
	v_and_b32_e32 v51, 7, v102
	v_mul_u32_u24_e32 v15, 3, v51
	v_lshlrev_b32_e32 v21, 3, v15
	global_load_dwordx4 v[15:18], v21, s[16:17] offset:48
	global_load_dwordx2 v[31:32], v19, s[16:17] offset:64
	global_load_dwordx2 v[34:35], v20, s[16:17] offset:64
	;; [unrolled: 1-line block ×3, first 2 shown]
	v_and_b32_e32 v52, 7, v33
	v_mul_u32_u24_e32 v19, 3, v52
	v_lshlrev_b32_e32 v23, 3, v19
	global_load_dwordx4 v[19:22], v23, s[16:17] offset:48
	global_load_dwordx2 v[46:47], v23, s[16:17] offset:64
	v_add_u32_e32 v27, 0x2a00, v4
	v_add_u32_e32 v23, 0x1e00, v4
	;; [unrolled: 1-line block ×3, first 2 shown]
	ds_read_b64 v[48:49], v4
	ds_read2_b64 v[23:26], v23 offset0:20 offset1:216
	ds_read2_b64 v[27:30], v27 offset0:28 offset1:224
	;; [unrolled: 1-line block ×3, first 2 shown]
	v_add_u32_e32 v53, 0x4200, v4
	s_movk_i32 s2, 0x60
	s_waitcnt vmcnt(7) lgkmcnt(2)
	v_mul_f32_e32 v54, v8, v24
	v_mul_f32_e32 v8, v8, v23
	v_fmac_f32_e32 v54, v7, v23
	v_fma_f32 v55, v7, v24, -v8
	s_waitcnt lgkmcnt(0)
	v_mul_f32_e32 v56, v41, v10
	v_mul_f32_e32 v7, v40, v10
	ds_read_b64 v[23:24], v2
	v_fmac_f32_e32 v56, v40, v9
	v_fma_f32 v40, v41, v9, -v7
	s_waitcnt vmcnt(6)
	v_mul_f32_e32 v41, v26, v12
	v_mul_f32_e32 v7, v25, v12
	v_fmac_f32_e32 v41, v25, v11
	v_fma_f32 v25, v26, v11, -v7
	v_mul_f32_e32 v26, v43, v14
	v_mul_f32_e32 v11, v42, v14
	v_add_u32_e32 v2, 0x4e00, v4
	ds_read2_b64 v[7:10], v53 offset0:44 offset1:240
	v_fmac_f32_e32 v26, v42, v13
	v_fma_f32 v42, v43, v13, -v11
	ds_read2_b64 v[11:14], v2 offset0:52 offset1:248
	ds_read_b64 v[1:2], v1
	s_waitcnt vmcnt(5) lgkmcnt(3)
	v_mul_f32_e32 v43, v16, v24
	v_mul_f32_e32 v16, v16, v23
	v_fmac_f32_e32 v43, v15, v23
	v_fma_f32 v23, v15, v24, -v16
	v_mul_f32_e32 v24, v18, v30
	v_fmac_f32_e32 v24, v17, v29
	v_mul_f32_e32 v15, v18, v29
	s_waitcnt vmcnt(4) lgkmcnt(1)
	v_mul_f32_e32 v29, v12, v32
	v_fmac_f32_e32 v29, v11, v31
	v_mul_f32_e32 v11, v11, v32
	v_fma_f32 v17, v17, v30, -v15
	v_fma_f32 v30, v12, v31, -v11
	s_waitcnt vmcnt(3)
	v_mul_f32_e32 v31, v14, v35
	v_mul_f32_e32 v11, v13, v35
	v_fmac_f32_e32 v31, v13, v34
	v_fma_f32 v32, v14, v34, -v11
	ds_read_b64 v[11:12], v6
	ds_read_b64 v[13:14], v5
	ds_read_b64 v[15:16], v4 offset:23520
	s_waitcnt vmcnt(2)
	v_mul_f32_e32 v18, v45, v10
	v_fmac_f32_e32 v18, v44, v9
	v_mul_f32_e32 v9, v45, v9
	v_fma_f32 v9, v44, v10, -v9
	s_waitcnt vmcnt(1)
	v_mul_f32_e32 v44, v8, v22
	v_mul_f32_e32 v10, v27, v20
	v_fmac_f32_e32 v44, v7, v21
	v_mul_f32_e32 v7, v7, v22
	v_mul_f32_e32 v34, v28, v20
	v_fma_f32 v35, v28, v19, -v10
	v_fma_f32 v45, v8, v21, -v7
	s_waitcnt vmcnt(0) lgkmcnt(0)
	v_mul_f32_e32 v53, v16, v47
	v_sub_f32_e32 v22, v54, v29
	v_sub_f32_e32 v21, v55, v30
	;; [unrolled: 1-line block ×6, first 2 shown]
	v_fmac_f32_e32 v34, v27, v19
	v_fmac_f32_e32 v53, v15, v46
	v_fma_f32 v26, v13, 2.0, -v29
	v_fma_f32 v27, v14, 2.0, -v30
	;; [unrolled: 1-line block ×4, first 2 shown]
	v_mul_f32_e32 v7, v15, v47
	v_sub_f32_e32 v13, v26, v13
	v_sub_f32_e32 v14, v27, v14
	;; [unrolled: 1-line block ×4, first 2 shown]
	v_fma_f32 v46, v16, v46, -v7
	v_sub_f32_e32 v16, v43, v18
	v_fma_f32 v25, v26, 2.0, -v13
	v_fma_f32 v26, v27, 2.0, -v14
	v_add_f32_e32 v27, v29, v31
	v_fma_f32 v1, v1, 2.0, -v42
	v_fma_f32 v31, v34, 2.0, -v44
	v_sub_f32_e32 v19, v48, v24
	v_fma_f32 v7, v43, 2.0, -v16
	v_sub_f32_e32 v24, v12, v40
	v_sub_f32_e32 v43, v2, v45
	;; [unrolled: 1-line block ×6, first 2 shown]
	v_fma_f32 v31, v1, 2.0, -v40
	v_add_f32_e32 v1, v42, v45
	v_fma_f32 v10, v48, 2.0, -v19
	v_fma_f32 v15, v49, 2.0, -v20
	;; [unrolled: 1-line block ×4, first 2 shown]
	v_lshlrev_b32_e32 v42, 2, v102
	v_sub_f32_e32 v7, v10, v7
	v_sub_f32_e32 v8, v15, v8
	v_and_or_b32 v42, v42, s2, v51
	v_fma_f32 v9, v10, 2.0, -v7
	v_fma_f32 v10, v15, 2.0, -v8
	v_add_f32_e32 v15, v19, v17
	v_sub_f32_e32 v16, v20, v16
	v_mul_u32_u24_e32 v42, 0x70, v42
	v_fma_f32 v17, v19, 2.0, -v15
	v_fma_f32 v18, v20, 2.0, -v16
	v_add3_u32 v42, 0, v42, v3
	s_barrier
	ds_write2_b64 v42, v[9:10], v[17:18] offset1:112
	v_add_u32_e32 v9, 0x400, v42
	v_sub_f32_e32 v23, v11, v56
	ds_write2_b64 v9, v[7:8], v[15:16] offset0:96 offset1:208
	v_lshlrev_b32_e32 v7, 2, v39
	s_mov_b32 s2, 0xffe0
	v_fma_f32 v19, v11, 2.0, -v23
	v_fma_f32 v20, v12, 2.0, -v24
	;; [unrolled: 1-line block ×4, first 2 shown]
	v_and_or_b32 v7, v7, s2, v36
	v_sub_f32_e32 v11, v19, v11
	v_sub_f32_e32 v12, v20, v12
	v_add_f32_e32 v21, v23, v21
	v_sub_f32_e32 v22, v24, v22
	v_mul_u32_u24_e32 v7, 0x70, v7
	v_fma_f32 v19, v19, 2.0, -v11
	v_fma_f32 v20, v20, 2.0, -v12
	;; [unrolled: 1-line block ×4, first 2 shown]
	v_add3_u32 v7, 0, v7, v3
	ds_write2_b64 v7, v[19:20], v[23:24] offset1:112
	v_add_u32_e32 v7, 0x400, v7
	ds_write2_b64 v7, v[11:12], v[21:22] offset0:96 offset1:208
	v_lshlrev_b32_e32 v7, 2, v103
	v_and_or_b32 v7, v7, s2, v50
	v_sub_f32_e32 v28, v30, v28
	v_mul_u32_u24_e32 v7, 0x70, v7
	v_fma_f32 v29, v29, 2.0, -v27
	v_fma_f32 v30, v30, 2.0, -v28
	v_add3_u32 v7, 0, v7, v3
	ds_write2_b64 v7, v[25:26], v[29:30] offset1:112
	v_add_u32_e32 v7, 0x400, v7
	v_fma_f32 v2, v2, 2.0, -v43
	v_fma_f32 v32, v35, 2.0, -v45
	ds_write2_b64 v7, v[13:14], v[27:28] offset0:96 offset1:208
	v_lshlrev_b32_e32 v7, 2, v33
	v_sub_f32_e32 v41, v2, v32
	v_and_or_b32 v7, v7, s2, v52
	v_fma_f32 v32, v2, 2.0, -v41
	v_sub_f32_e32 v2, v43, v44
	v_mul_u32_u24_e32 v7, 0x70, v7
	v_fma_f32 v35, v43, 2.0, -v2
	v_add3_u32 v3, 0, v7, v3
	ds_write2_b64 v3, v[31:32], v[34:35] offset1:112
	v_add_u32_e32 v3, 0x400, v3
	ds_write2_b64 v3, v[40:41], v[1:2] offset0:96 offset1:208
	v_add_u32_e32 v3, 0x1420, v4
	s_waitcnt lgkmcnt(0)
	s_barrier
	ds_read2_b64 v[17:20], v3 offset1:252
	v_add_u32_e32 v3, 0x2220, v4
	ds_read2_b64 v[21:24], v3 offset1:252
	v_add_u32_e32 v3, 0x3020, v4
	;; [unrolled: 2-line block ×4, first 2 shown]
	ds_read2st64_b64 v[13:16], v4 offset1:7
	ds_read2_b64 v[33:36], v3 offset1:252
	ds_read_b64 v[42:43], v6
	ds_read_b64 v[44:45], v4 offset:23072
	v_cmp_gt_u32_e64 s[2:3], 56, v0
                                        ; implicit-def: $vgpr12
                                        ; implicit-def: $vgpr8
	s_and_saveexec_b64 s[18:19], s[2:3]
	s_cbranch_execz .LBB0_16
; %bb.15:
	v_add_u32_e32 v0, 64, v4
	ds_read_b64 v[40:41], v5
	ds_read2st64_b64 v[1:4], v0 offset0:13 offset1:20
	ds_read2st64_b64 v[9:12], v0 offset0:27 offset1:34
	ds_read2st64_b64 v[5:8], v0 offset0:41 offset1:48
.LBB0_16:
	s_or_b64 exec, exec, s[18:19]
	v_mul_u32_u24_e32 v0, 6, v102
	v_lshlrev_b32_e32 v0, 3, v0
	v_and_b32_e32 v46, 31, v39
	global_load_dwordx4 v[47:50], v0, s[16:17] offset:240
	global_load_dwordx4 v[51:54], v0, s[16:17] offset:256
	;; [unrolled: 1-line block ×3, first 2 shown]
	v_mul_u32_u24_e32 v0, 6, v46
	v_lshlrev_b32_e32 v0, 3, v0
	global_load_dwordx4 v[59:62], v0, s[16:17] offset:240
	global_load_dwordx4 v[63:66], v0, s[16:17] offset:256
	;; [unrolled: 1-line block ×3, first 2 shown]
	s_load_dwordx2 s[4:5], s[4:5], 0x8
	s_mov_b32 s18, 0xbf5ff5aa
	s_mov_b32 s19, 0x3f3bfb3b
	;; [unrolled: 1-line block ×4, first 2 shown]
	v_or_b32_e32 v105, 64, v102
	v_or_b32_e32 v106, 0x80, v102
	;; [unrolled: 1-line block ×3, first 2 shown]
	v_mul_lo_u32 v82, v37, v107
	v_or_b32_e32 v108, 0xc0, v102
	s_andn2_b64 vcc, exec, s[0:1]
	s_waitcnt vmcnt(5) lgkmcnt(0)
	v_mul_f32_e32 v0, v48, v16
	v_mul_f32_e32 v48, v48, v15
	;; [unrolled: 1-line block ×4, first 2 shown]
	s_waitcnt vmcnt(4)
	v_mul_f32_e32 v72, v52, v24
	v_mul_f32_e32 v52, v52, v23
	;; [unrolled: 1-line block ×4, first 2 shown]
	s_waitcnt vmcnt(3)
	v_mul_f32_e32 v74, v56, v32
	v_mul_f32_e32 v56, v56, v31
	v_mul_f32_e32 v75, v58, v36
	v_mul_f32_e32 v58, v58, v35
	v_fmac_f32_e32 v0, v47, v15
	v_fma_f32 v15, v47, v16, -v48
	v_fmac_f32_e32 v71, v49, v19
	v_fma_f32 v16, v49, v20, -v50
	;; [unrolled: 2-line block ×6, first 2 shown]
	s_waitcnt vmcnt(2)
	v_mul_f32_e32 v35, v60, v18
	v_mul_f32_e32 v27, v60, v17
	;; [unrolled: 1-line block ×4, first 2 shown]
	s_waitcnt vmcnt(1)
	v_mul_f32_e32 v31, v25, v64
	v_mul_f32_e32 v47, v26, v64
	s_waitcnt vmcnt(0)
	v_mul_f32_e32 v49, v34, v68
	v_mul_f32_e32 v50, v33, v68
	;; [unrolled: 1-line block ×3, first 2 shown]
	v_fmac_f32_e32 v35, v59, v17
	v_fma_f32 v53, v59, v18, -v27
	v_fmac_f32_e32 v36, v61, v21
	v_fma_f32 v54, v61, v22, -v28
	v_fma_f32 v55, v26, v63, -v31
	v_add_f32_e32 v17, v0, v75
	v_add_f32_e32 v18, v15, v24
	v_sub_f32_e32 v15, v15, v24
	v_add_f32_e32 v21, v71, v74
	v_add_f32_e32 v22, v16, v23
	v_sub_f32_e32 v24, v71, v74
	v_sub_f32_e32 v16, v16, v23
	v_add_f32_e32 v23, v72, v73
	v_sub_f32_e32 v26, v73, v72
	v_mul_f32_e32 v52, v44, v70
	v_fmac_f32_e32 v47, v25, v63
	v_fmac_f32_e32 v49, v33, v67
	v_fma_f32 v33, v34, v67, -v50
	v_fmac_f32_e32 v51, v44, v69
	v_sub_f32_e32 v0, v0, v75
	v_add_f32_e32 v25, v19, v20
	v_sub_f32_e32 v19, v20, v19
	v_add_f32_e32 v20, v21, v17
	v_sub_f32_e32 v44, v21, v17
	v_sub_f32_e32 v50, v23, v21
	v_add_f32_e32 v21, v26, v24
	v_sub_f32_e32 v57, v0, v26
	v_sub_f32_e32 v58, v24, v0
	v_add_f32_e32 v59, v21, v0
	v_mul_lo_u32 v0, v37, v102
	v_mul_f32_e32 v48, v30, v66
	v_mul_f32_e32 v32, v29, v66
	v_fma_f32 v34, v45, v69, -v52
	v_add_f32_e32 v27, v22, v18
	v_sub_f32_e32 v45, v22, v18
	v_sub_f32_e32 v52, v25, v22
	v_add_f32_e32 v22, v19, v16
	v_add_f32_e32 v31, v23, v20
	v_fmac_f32_e32 v48, v29, v65
	v_fma_f32 v56, v30, v65, -v32
	v_sub_f32_e32 v29, v19, v16
	v_sub_f32_e32 v19, v15, v19
	;; [unrolled: 1-line block ×3, first 2 shown]
	v_add_f32_e32 v32, v25, v27
	v_add_f32_e32 v15, v22, v15
	;; [unrolled: 1-line block ×3, first 2 shown]
	v_mov_b32_e32 v13, 3
	v_add_f32_e32 v60, v32, v14
	v_lshlrev_b32_sdwa v14, v13, v0 dst_sel:DWORD dst_unused:UNUSED_PAD src0_sel:DWORD src1_sel:BYTE_0
	v_sub_f32_e32 v17, v17, v23
	v_sub_f32_e32 v18, v18, v25
	;; [unrolled: 1-line block ×3, first 2 shown]
	v_lshlrev_b32_sdwa v25, v13, v0 dst_sel:DWORD dst_unused:UNUSED_PAD src0_sel:DWORD src1_sel:BYTE_1
	global_load_dwordx2 v[20:21], v14, s[4:5]
	global_load_dwordx2 v[23:24], v25, s[4:5] offset:2048
	v_bfe_u32 v25, v0, 16, 8
	v_or_b32_e32 v0, 32, v102
	v_mul_lo_u32 v68, v37, v0
	v_mov_b32_e32 v14, 0x1000
	v_lshl_or_b32 v25, v25, 3, v14
	global_load_dwordx2 v[25:26], v25, s[4:5]
	v_mul_f32_e32 v64, 0x3f08b237, v29
	v_lshlrev_b32_sdwa v27, v13, v68 dst_sel:DWORD dst_unused:UNUSED_PAD src0_sel:DWORD src1_sel:BYTE_0
	v_lshlrev_b32_sdwa v29, v13, v68 dst_sel:DWORD dst_unused:UNUSED_PAD src0_sel:DWORD src1_sel:BYTE_1
	v_mul_f32_e32 v63, 0x3f08b237, v28
	global_load_dwordx2 v[27:28], v27, s[4:5]
	v_mov_b32_e32 v67, v22
	global_load_dwordx2 v[29:30], v29, s[4:5] offset:2048
	v_fmac_f32_e32 v67, 0xbf955555, v31
	v_bfe_u32 v31, v68, 16, 8
	v_mov_b32_e32 v69, v60
	v_lshl_or_b32 v31, v31, 3, v14
	v_fmac_f32_e32 v69, 0xbf955555, v32
	global_load_dwordx2 v[31:32], v31, s[4:5]
	v_mul_f32_e32 v17, 0x3f4a47b2, v17
	v_mul_f32_e32 v18, 0x3f4a47b2, v18
	;; [unrolled: 1-line block ×6, first 2 shown]
	v_fma_f32 v61, v44, s19, -v61
	v_fma_f32 v62, v45, s19, -v62
	;; [unrolled: 1-line block ×3, first 2 shown]
	v_fmac_f32_e32 v17, 0x3d64c772, v50
	v_fma_f32 v45, v45, s20, -v18
	v_fmac_f32_e32 v18, 0x3d64c772, v52
	v_fma_f32 v50, v58, s18, -v63
	;; [unrolled: 2-line block ×3, first 2 shown]
	v_fma_f32 v52, v57, s21, -v65
	v_fma_f32 v57, v19, s21, -v66
	v_add_f32_e32 v58, v17, v67
	v_add_f32_e32 v17, v61, v67
	;; [unrolled: 1-line block ×3, first 2 shown]
	v_fmac_f32_e32 v16, 0xbee1c552, v15
	v_fmac_f32_e32 v57, 0xbee1c552, v15
	;; [unrolled: 1-line block ×3, first 2 shown]
	v_add_f32_e32 v65, v18, v69
	v_add_f32_e32 v18, v62, v69
	;; [unrolled: 1-line block ×3, first 2 shown]
	v_sub_f32_e32 v67, v17, v16
	v_add_f32_e32 v19, v16, v17
	v_sub_f32_e32 v17, v44, v57
	v_mul_lo_u32 v44, v37, v105
	v_add_f32_e32 v45, v45, v69
	v_fmac_f32_e32 v50, 0xbee1c552, v59
	v_fmac_f32_e32 v52, 0xbee1c552, v59
	v_fmac_f32_e32 v63, 0xbee1c552, v59
	v_fmac_f32_e32 v64, 0xbee1c552, v15
	v_sub_f32_e32 v66, v45, v52
	v_add_f32_e32 v68, v50, v18
	v_sub_f32_e32 v69, v18, v50
	v_add_f32_e32 v18, v52, v45
	v_lshlrev_b32_sdwa v45, v13, v44 dst_sel:DWORD dst_unused:UNUSED_PAD src0_sel:DWORD src1_sel:BYTE_0
	v_add_f32_e32 v59, v64, v58
	v_sub_f32_e32 v61, v65, v63
	v_sub_f32_e32 v15, v58, v64
	v_add_f32_e32 v16, v63, v65
	v_add_f32_e32 v63, v35, v51
	;; [unrolled: 1-line block ×3, first 2 shown]
	v_sub_f32_e32 v65, v35, v51
	v_sub_f32_e32 v70, v53, v34
	v_add_f32_e32 v71, v36, v49
	v_add_f32_e32 v72, v54, v33
	v_sub_f32_e32 v73, v36, v49
	v_sub_f32_e32 v74, v54, v33
	v_add_f32_e32 v75, v47, v48
	v_sub_f32_e32 v77, v48, v47
	v_lshlrev_b32_sdwa v47, v13, v44 dst_sel:DWORD dst_unused:UNUSED_PAD src0_sel:DWORD src1_sel:BYTE_1
	global_load_dwordx2 v[33:34], v45, s[4:5]
	global_load_dwordx2 v[35:36], v47, s[4:5] offset:2048
	v_bfe_u32 v44, v44, 16, 8
	v_or_b32_e32 v48, 0x60, v102
	v_lshl_or_b32 v44, v44, 3, v14
	v_mul_lo_u32 v49, v37, v48
	global_load_dwordx2 v[44:45], v44, s[4:5]
	s_waitcnt vmcnt(7)
	v_mul_f32_e32 v47, v21, v24
	v_add_f32_e32 v76, v55, v56
	v_sub_f32_e32 v78, v56, v55
	v_fma_f32 v55, v20, v23, -v47
	v_mul_f32_e32 v20, v20, v24
	v_fmac_f32_e32 v20, v21, v23
	v_lshlrev_b32_sdwa v21, v13, v49 dst_sel:DWORD dst_unused:UNUSED_PAD src0_sel:DWORD src1_sel:BYTE_0
	v_lshlrev_b32_sdwa v50, v13, v49 dst_sel:DWORD dst_unused:UNUSED_PAD src0_sel:DWORD src1_sel:BYTE_1
	global_load_dwordx2 v[23:24], v21, s[4:5]
	global_load_dwordx2 v[47:48], v50, s[4:5] offset:2048
	v_mul_lo_u32 v56, v37, v106
	v_bfe_u32 v49, v49, 16, 8
	v_lshl_or_b32 v49, v49, 3, v14
	global_load_dwordx2 v[49:50], v49, s[4:5]
	v_lshlrev_b32_sdwa v57, v13, v56 dst_sel:DWORD dst_unused:UNUSED_PAD src0_sel:DWORD src1_sel:BYTE_0
	v_lshlrev_b32_sdwa v58, v13, v56 dst_sel:DWORD dst_unused:UNUSED_PAD src0_sel:DWORD src1_sel:BYTE_1
	global_load_dwordx2 v[51:52], v57, s[4:5]
	global_load_dwordx2 v[53:54], v58, s[4:5] offset:2048
	s_waitcnt vmcnt(11)
	v_mul_f32_e32 v57, v20, v26
	v_mul_f32_e32 v26, v55, v26
	v_fma_f32 v81, v25, v55, -v57
	v_fmac_f32_e32 v26, v25, v20
	v_bfe_u32 v25, v56, 16, 8
	v_lshl_or_b32 v25, v25, 3, v14
	s_waitcnt vmcnt(9)
	v_mul_f32_e32 v20, v28, v30
	global_load_dwordx2 v[55:56], v25, s[4:5]
	v_fma_f32 v20, v27, v29, -v20
	v_mul_f32_e32 v27, v27, v30
	v_fmac_f32_e32 v27, v28, v29
	s_waitcnt vmcnt(9)
	v_mul_f32_e32 v28, v27, v32
	v_fma_f32 v29, v31, v20, -v28
	v_mul_f32_e32 v28, v20, v32
	v_lshlrev_b32_sdwa v20, v13, v82 dst_sel:DWORD dst_unused:UNUSED_PAD src0_sel:DWORD src1_sel:BYTE_0
	v_fmac_f32_e32 v28, v31, v27
	global_load_dwordx2 v[31:32], v20, s[4:5]
	v_lshlrev_b32_sdwa v20, v13, v82 dst_sel:DWORD dst_unused:UNUSED_PAD src0_sel:DWORD src1_sel:BYTE_1
	global_load_dwordx2 v[57:58], v20, s[4:5] offset:2048
	v_add_f32_e32 v21, v72, v64
	v_add_f32_e32 v79, v71, v63
	v_sub_f32_e32 v80, v71, v63
	v_mul_f32_e32 v20, v22, v26
	v_sub_f32_e32 v83, v72, v64
	v_sub_f32_e32 v27, v63, v75
	;; [unrolled: 1-line block ×4, first 2 shown]
	v_add_f32_e32 v71, v78, v74
	v_add_f32_e32 v72, v76, v21
	v_mul_f32_e32 v25, v60, v26
	v_fma_f32 v26, v60, v81, -v20
	v_sub_f32_e32 v60, v64, v76
	v_add_f32_e32 v20, v77, v73
	v_add_f32_e32 v64, v75, v79
	;; [unrolled: 1-line block ×4, first 2 shown]
	v_sub_f32_e32 v75, v77, v73
	v_sub_f32_e32 v76, v65, v77
	;; [unrolled: 1-line block ×3, first 2 shown]
	v_add_f32_e32 v20, v20, v65
	v_sub_f32_e32 v65, v78, v74
	v_sub_f32_e32 v77, v70, v78
	;; [unrolled: 1-line block ×3, first 2 shown]
	v_add_f32_e32 v70, v64, v42
	v_mul_f32_e32 v42, 0x3f4a47b2, v27
	v_mov_b32_e32 v79, v71
	v_fmac_f32_e32 v79, 0xbf955555, v72
	v_mul_f32_e32 v27, 0x3d64c772, v30
	v_fma_f32 v72, v80, s20, -v42
	v_fmac_f32_e32 v42, 0x3d64c772, v30
	v_fmac_f32_e32 v25, v22, v81
	v_mul_f32_e32 v22, v59, v28
	v_fma_f32 v43, v80, s19, -v27
	v_mul_f32_e32 v27, v61, v28
	v_fma_f32 v28, v61, v29, -v22
	v_fmac_f32_e32 v27, v59, v29
	v_mov_b32_e32 v78, v70
	v_fmac_f32_e32 v78, 0xbf955555, v64
	s_waitcnt vmcnt(9)
	v_mul_f32_e32 v30, v33, v36
	v_mul_f32_e32 v22, v34, v36
	v_fmac_f32_e32 v30, v34, v35
	v_bfe_u32 v34, v82, 16, 8
	v_lshl_or_b32 v34, v34, 3, v14
	v_fma_f32 v22, v33, v35, -v22
	global_load_dwordx2 v[35:36], v34, s[4:5]
	s_waitcnt vmcnt(9)
	v_mul_f32_e32 v33, v30, v45
	v_fma_f32 v33, v44, v22, -v33
	v_mul_f32_e32 v22, v22, v45
	v_fmac_f32_e32 v22, v44, v30
	v_mul_f32_e32 v29, v66, v22
	v_mul_f32_e32 v22, v62, v22
	v_fma_f32 v30, v66, v33, -v22
	s_waitcnt vmcnt(7)
	v_mul_f32_e32 v22, v24, v48
	v_fma_f32 v22, v23, v47, -v22
	v_mul_f32_e32 v23, v23, v48
	v_fmac_f32_e32 v23, v24, v47
	v_mul_lo_u32 v47, v37, v108
	s_waitcnt vmcnt(6)
	v_mul_f32_e32 v24, v23, v50
	v_fma_f32 v24, v49, v22, -v24
	v_mul_f32_e32 v34, v22, v50
	s_waitcnt vmcnt(4)
	v_mul_f32_e32 v22, v52, v54
	v_lshlrev_b32_sdwa v48, v13, v47 dst_sel:DWORD dst_unused:UNUSED_PAD src0_sel:DWORD src1_sel:BYTE_0
	v_fmac_f32_e32 v34, v49, v23
	v_fma_f32 v49, v51, v53, -v22
	v_mul_f32_e32 v50, v51, v54
	v_lshlrev_b32_sdwa v51, v13, v47 dst_sel:DWORD dst_unused:UNUSED_PAD src0_sel:DWORD src1_sel:BYTE_1
	global_load_dwordx2 v[22:23], v48, s[4:5]
	global_load_dwordx2 v[44:45], v51, s[4:5] offset:2048
	v_bfe_u32 v47, v47, 16, 8
	v_fmac_f32_e32 v50, v52, v53
	v_lshl_or_b32 v47, v47, 3, v14
	v_mul_lo_u32 v53, v37, v46
	global_load_dwordx2 v[47:48], v47, s[4:5]
	s_waitcnt vmcnt(6)
	v_mul_f32_e32 v51, v50, v56
	v_mul_f32_e32 v61, v49, v56
	v_lshlrev_b32_sdwa v54, v13, v53 dst_sel:DWORD dst_unused:UNUSED_PAD src0_sel:DWORD src1_sel:BYTE_0
	v_fma_f32 v66, v55, v49, -v51
	v_fmac_f32_e32 v61, v55, v50
	v_lshlrev_b32_sdwa v55, v13, v53 dst_sel:DWORD dst_unused:UNUSED_PAD src0_sel:DWORD src1_sel:BYTE_1
	global_load_dwordx2 v[49:50], v54, s[4:5]
	global_load_dwordx2 v[51:52], v55, s[4:5] offset:2048
	v_bfe_u32 v53, v53, 16, 8
	v_lshl_or_b32 v53, v53, 3, v14
	v_or_b32_e32 v56, 32, v46
	global_load_dwordx2 v[53:54], v53, s[4:5]
	v_mul_lo_u32 v59, v37, v56
	s_waitcnt vmcnt(7)
	v_mul_f32_e32 v55, v32, v58
	v_fma_f32 v64, v31, v57, -v55
	v_mul_f32_e32 v80, v31, v58
	v_lshlrev_b32_sdwa v31, v13, v59 dst_sel:DWORD dst_unused:UNUSED_PAD src0_sel:DWORD src1_sel:BYTE_0
	v_fmac_f32_e32 v80, v32, v57
	v_lshlrev_b32_sdwa v32, v13, v59 dst_sel:DWORD dst_unused:UNUSED_PAD src0_sel:DWORD src1_sel:BYTE_1
	global_load_dwordx2 v[55:56], v31, s[4:5]
	global_load_dwordx2 v[57:58], v32, s[4:5] offset:2048
	v_fmac_f32_e32 v29, v62, v33
	v_bfe_u32 v33, v59, 16, 8
	v_lshl_or_b32 v33, v33, 3, v14
	v_mul_f32_e32 v81, 0x3f4a47b2, v60
	global_load_dwordx2 v[59:60], v33, s[4:5]
	v_add_f32_e32 v85, v42, v78
	v_or_b32_e32 v42, 64, v46
	v_mul_f32_e32 v82, 0x3f08b237, v65
	v_mul_lo_u32 v65, v37, v42
	v_mul_f32_e32 v31, v68, v34
	v_mul_f32_e32 v32, v67, v34
	v_fma_f32 v32, v68, v24, -v32
	v_mul_f32_e32 v33, 0x3d64c772, v63
	v_fmac_f32_e32 v31, v67, v24
	v_mul_f32_e32 v24, v19, v61
	v_mul_f32_e32 v75, 0x3f08b237, v75
	v_fma_f32 v84, v83, s19, -v33
	v_mul_f32_e32 v33, 0xbf5ff5aa, v73
	v_fma_f32 v34, v69, v66, -v24
	v_fma_f32 v73, v73, s18, -v75
	v_fmac_f32_e32 v75, 0xbeae86e6, v76
	v_fma_f32 v76, v76, s21, -v33
	v_mul_f32_e32 v33, 0xbf5ff5aa, v74
	v_fma_f32 v74, v74, s18, -v82
	v_fmac_f32_e32 v82, 0xbeae86e6, v77
	v_fma_f32 v77, v77, s21, -v33
	v_mul_f32_e32 v33, v69, v61
	v_fma_f32 v83, v83, s20, -v81
	v_fmac_f32_e32 v81, 0x3d64c772, v63
	v_add_f32_e32 v86, v43, v78
	v_fmac_f32_e32 v33, v19, v66
	v_fmac_f32_e32 v82, 0xbee1c552, v21
	v_add_f32_e32 v88, v81, v79
	s_waitcnt vmcnt(9)
	v_mul_f32_e32 v24, v80, v36
	v_mul_f32_e32 v36, v64, v36
	v_fma_f32 v24, v35, v64, -v24
	v_fmac_f32_e32 v36, v35, v80
	v_lshlrev_b32_sdwa v35, v13, v65 dst_sel:DWORD dst_unused:UNUSED_PAD src0_sel:DWORD src1_sel:BYTE_0
	global_load_dwordx2 v[61:62], v35, s[4:5]
	v_lshlrev_b32_sdwa v35, v13, v65 dst_sel:DWORD dst_unused:UNUSED_PAD src0_sel:DWORD src1_sel:BYTE_1
	global_load_dwordx2 v[63:64], v35, s[4:5] offset:2048
	v_mul_f32_e32 v42, v18, v36
	v_fmac_f32_e32 v42, v17, v24
	v_mul_f32_e32 v17, v17, v36
	v_fma_f32 v43, v18, v24, -v17
	v_fmac_f32_e32 v75, 0xbee1c552, v20
	v_fmac_f32_e32 v74, 0xbee1c552, v21
	;; [unrolled: 1-line block ×5, first 2 shown]
	v_sub_f32_e32 v20, v86, v74
	v_add_f32_e32 v21, v74, v86
	s_movk_i32 s18, 0xc0
	s_waitcnt vmcnt(9)
	v_mul_f32_e32 v18, v22, v45
	v_mul_f32_e32 v17, v23, v45
	v_fmac_f32_e32 v18, v23, v44
	v_fma_f32 v17, v22, v44, -v17
	s_waitcnt vmcnt(8)
	v_mul_f32_e32 v19, v18, v48
	v_fma_f32 v19, v47, v17, -v19
	v_mul_f32_e32 v17, v17, v48
	v_fmac_f32_e32 v17, v47, v18
	v_mul_f32_e32 v44, v16, v17
	v_mul_f32_e32 v17, v15, v17
	v_fma_f32 v45, v16, v19, -v17
	s_waitcnt vmcnt(6)
	v_mul_f32_e32 v17, v49, v52
	v_mul_f32_e32 v16, v50, v52
	v_fmac_f32_e32 v17, v50, v51
	v_or_b32_e32 v18, 0x60, v46
	v_fma_f32 v16, v49, v51, -v16
	v_fmac_f32_e32 v44, v15, v19
	s_waitcnt vmcnt(5)
	v_mul_f32_e32 v15, v17, v54
	v_mul_lo_u32 v24, v37, v18
	v_fma_f32 v19, v53, v16, -v15
	v_mul_f32_e32 v15, v16, v54
	v_fmac_f32_e32 v15, v53, v17
	v_mul_f32_e32 v35, v71, v15
	v_mul_f32_e32 v15, v70, v15
	v_fma_f32 v36, v71, v19, -v15
	v_bfe_u32 v15, v65, 16, 8
	v_lshlrev_b32_sdwa v47, v13, v24 dst_sel:DWORD dst_unused:UNUSED_PAD src0_sel:DWORD src1_sel:BYTE_0
	v_lshlrev_b32_sdwa v48, v13, v24 dst_sel:DWORD dst_unused:UNUSED_PAD src0_sel:DWORD src1_sel:BYTE_1
	v_bfe_u32 v24, v24, 16, 8
	s_waitcnt vmcnt(3)
	v_mul_f32_e32 v17, v56, v58
	v_lshl_or_b32 v15, v15, 3, v14
	v_lshl_or_b32 v24, v24, 3, v14
	global_load_dwordx2 v[15:16], v15, s[4:5]
	v_fma_f32 v49, v55, v57, -v17
	global_load_dwordx2 v[17:18], v47, s[4:5]
	global_load_dwordx2 v[22:23], v48, s[4:5] offset:2048
	v_mul_f32_e32 v50, v55, v58
	global_load_dwordx2 v[47:48], v24, s[4:5]
	v_or_b32_e32 v24, 0x80, v46
	v_mul_lo_u32 v24, v37, v24
	v_fmac_f32_e32 v50, v56, v57
	s_waitcnt vmcnt(6)
	v_mul_f32_e32 v51, v50, v60
	v_fmac_f32_e32 v35, v70, v19
	v_bfe_u32 v19, v24, 16, 8
	v_fma_f32 v69, v59, v49, -v51
	v_lshlrev_b32_sdwa v51, v13, v24 dst_sel:DWORD dst_unused:UNUSED_PAD src0_sel:DWORD src1_sel:BYTE_0
	v_lshlrev_b32_sdwa v56, v13, v24 dst_sel:DWORD dst_unused:UNUSED_PAD src0_sel:DWORD src1_sel:BYTE_1
	v_lshl_or_b32 v19, v19, 3, v14
	global_load_dwordx2 v[52:53], v51, s[4:5]
	global_load_dwordx2 v[54:55], v56, s[4:5] offset:2048
	v_mul_f32_e32 v49, v49, v60
	global_load_dwordx2 v[56:57], v19, s[4:5]
	v_or_b32_e32 v19, 0xa0, v46
	v_mul_lo_u32 v19, v37, v19
	v_fmac_f32_e32 v49, v59, v50
	v_add_f32_e32 v60, v82, v85
	v_sub_f32_e32 v51, v88, v75
	v_mul_f32_e32 v24, v60, v49
	v_mul_f32_e32 v50, v51, v49
	v_fma_f32 v51, v51, v69, -v24
	v_lshlrev_b32_sdwa v24, v13, v19 dst_sel:DWORD dst_unused:UNUSED_PAD src0_sel:DWORD src1_sel:BYTE_0
	v_lshlrev_b32_sdwa v49, v13, v19 dst_sel:DWORD dst_unused:UNUSED_PAD src0_sel:DWORD src1_sel:BYTE_1
	global_load_dwordx2 v[58:59], v24, s[4:5]
	global_load_dwordx2 v[65:66], v49, s[4:5] offset:2048
	v_bfe_u32 v19, v19, 16, 8
	v_lshl_or_b32 v19, v19, 3, v14
	global_load_dwordx2 v[67:68], v19, s[4:5]
	v_or_b32_e32 v46, 0xc0, v46
	v_mul_lo_u32 v46, v37, v46
	s_waitcnt vmcnt(10)
	v_mul_f32_e32 v49, v62, v64
	v_mul_f32_e32 v64, v61, v64
	v_fmac_f32_e32 v50, v60, v69
	v_fmac_f32_e32 v64, v62, v63
	v_lshlrev_b32_sdwa v60, v13, v46 dst_sel:DWORD dst_unused:UNUSED_PAD src0_sel:DWORD src1_sel:BYTE_0
	v_lshlrev_b32_sdwa v62, v13, v46 dst_sel:DWORD dst_unused:UNUSED_PAD src0_sel:DWORD src1_sel:BYTE_1
	v_fma_f32 v49, v61, v63, -v49
	global_load_dwordx2 v[60:61], v60, s[4:5]
	v_bfe_u32 v46, v46, 16, 8
	global_load_dwordx2 v[62:63], v62, s[4:5] offset:2048
	v_lshl_or_b32 v46, v46, 3, v14
	global_load_dwordx2 v[69:70], v46, s[4:5]
	v_add_f32_e32 v24, v72, v78
	v_add_f32_e32 v19, v84, v79
	;; [unrolled: 1-line block ×4, first 2 shown]
	v_sub_f32_e32 v19, v19, v73
	v_add_f32_e32 v72, v77, v24
	v_sub_f32_e32 v73, v71, v76
	v_sub_f32_e32 v24, v24, v77
	v_add_f32_e32 v71, v76, v71
	s_waitcnt vmcnt(12)
	v_mul_f32_e32 v74, v64, v16
	v_mul_f32_e32 v16, v49, v16
	v_fmac_f32_e32 v16, v15, v64
	v_fma_f32 v74, v15, v49, -v74
	v_mul_f32_e32 v80, v73, v16
	v_mul_f32_e32 v15, v72, v16
	s_waitcnt vmcnt(10)
	v_mul_f32_e32 v16, v17, v23
	v_fma_f32 v81, v73, v74, -v15
	v_mul_f32_e32 v15, v18, v23
	v_fmac_f32_e32 v16, v18, v22
	v_fma_f32 v15, v17, v22, -v15
	s_waitcnt vmcnt(9)
	v_mul_f32_e32 v17, v16, v48
	v_fma_f32 v17, v47, v15, -v17
	v_mul_f32_e32 v15, v15, v48
	v_fmac_f32_e32 v15, v47, v16
	v_mul_f32_e32 v86, v46, v15
	v_mul_f32_e32 v15, v20, v15
	s_waitcnt vmcnt(7)
	v_mul_f32_e32 v16, v52, v55
	v_fma_f32 v87, v46, v17, -v15
	v_mul_f32_e32 v15, v53, v55
	v_fmac_f32_e32 v16, v53, v54
	v_fma_f32 v15, v52, v54, -v15
	v_fmac_f32_e32 v86, v20, v17
	s_waitcnt vmcnt(6)
	v_mul_f32_e32 v17, v16, v57
	v_fma_f32 v17, v56, v15, -v17
	v_mul_f32_e32 v15, v15, v57
	v_fmac_f32_e32 v15, v56, v16
	v_mul_f32_e32 v96, v19, v15
	v_mul_f32_e32 v15, v21, v15
	s_waitcnt vmcnt(4)
	v_mul_f32_e32 v16, v58, v66
	v_fma_f32 v97, v19, v17, -v15
	v_mul_f32_e32 v15, v59, v66
	v_fmac_f32_e32 v16, v59, v65
	v_fmac_f32_e32 v96, v21, v17
	v_fma_f32 v15, v58, v65, -v15
	s_waitcnt vmcnt(3)
	v_mul_f32_e32 v17, v16, v68
	v_and_b32_e32 v23, 31, v103
	v_fma_f32 v17, v67, v15, -v17
	v_mul_f32_e32 v15, v15, v68
	v_fmac_f32_e32 v15, v67, v16
	v_mul_lo_u32 v16, v37, v23
	v_mul_f32_e32 v98, v71, v15
	v_mul_f32_e32 v15, v24, v15
	v_fmac_f32_e32 v98, v24, v17
	v_fma_f32 v99, v71, v17, -v15
	v_lshlrev_b32_sdwa v15, v13, v16 dst_sel:DWORD dst_unused:UNUSED_PAD src0_sel:DWORD src1_sel:BYTE_0
	v_lshlrev_b32_sdwa v17, v13, v16 dst_sel:DWORD dst_unused:UNUSED_PAD src0_sel:DWORD src1_sel:BYTE_1
	global_load_dwordx2 v[46:47], v15, s[4:5]
	global_load_dwordx2 v[48:49], v17, s[4:5] offset:2048
	s_waitcnt vmcnt(3)
	v_mul_f32_e32 v17, v60, v63
	v_mul_f32_e32 v15, v61, v63
	v_fmac_f32_e32 v17, v61, v62
	v_fma_f32 v15, v60, v62, -v15
	s_waitcnt vmcnt(2)
	v_mul_f32_e32 v19, v17, v70
	v_fma_f32 v19, v69, v15, -v19
	v_mul_f32_e32 v15, v15, v70
	v_add_f32_e32 v22, v75, v88
	v_fmac_f32_e32 v15, v69, v17
	v_sub_f32_e32 v18, v85, v82
	v_mul_f32_e32 v100, v22, v15
	v_fmac_f32_e32 v100, v18, v19
	v_mul_f32_e32 v15, v18, v15
	v_or_b32_e32 v17, 32, v23
	v_or_b32_e32 v18, 64, v23
	;; [unrolled: 1-line block ×6, first 2 shown]
	v_mul_lo_u32 v17, v37, v17
	v_mul_lo_u32 v18, v37, v18
	;; [unrolled: 1-line block ×6, first 2 shown]
	v_fma_f32 v101, v22, v19, -v15
	v_bfe_u32 v15, v16, 16, 8
	v_lshlrev_b32_sdwa v16, v13, v17 dst_sel:DWORD dst_unused:UNUSED_PAD src0_sel:DWORD src1_sel:BYTE_0
	v_lshlrev_b32_sdwa v19, v13, v17 dst_sel:DWORD dst_unused:UNUSED_PAD src0_sel:DWORD src1_sel:BYTE_1
	v_bfe_u32 v17, v17, 16, 8
	v_lshlrev_b32_sdwa v20, v13, v18 dst_sel:DWORD dst_unused:UNUSED_PAD src0_sel:DWORD src1_sel:BYTE_0
	v_lshlrev_b32_sdwa v22, v13, v18 dst_sel:DWORD dst_unused:UNUSED_PAD src0_sel:DWORD src1_sel:BYTE_1
	;; [unrolled: 3-line block ×5, first 2 shown]
	v_lshlrev_b32_sdwa v77, v13, v55 dst_sel:DWORD dst_unused:UNUSED_PAD src0_sel:DWORD src1_sel:BYTE_0
	v_lshlrev_b32_sdwa v109, v13, v55 dst_sel:DWORD dst_unused:UNUSED_PAD src0_sel:DWORD src1_sel:BYTE_1
	v_bfe_u32 v13, v55, 16, 8
	v_lshl_or_b32 v15, v15, 3, v14
	v_lshl_or_b32 v17, v17, 3, v14
	;; [unrolled: 1-line block ×5, first 2 shown]
	v_bfe_u32 v54, v54, 16, 8
	v_lshl_or_b32 v110, v13, 3, v14
	v_mul_u32_u24_e32 v13, 6, v23
	v_fmac_f32_e32 v80, v72, v74
	v_lshl_or_b32 v76, v54, 3, v14
	v_lshlrev_b32_e32 v111, 3, v13
	global_load_dwordx2 v[94:95], v15, s[4:5]
	global_load_dwordx2 v[90:91], v16, s[4:5]
	global_load_dwordx2 v[92:93], v19, s[4:5] offset:2048
	global_load_dwordx2 v[88:89], v17, s[4:5]
	global_load_dwordx2 v[82:83], v20, s[4:5]
	global_load_dwordx2 v[84:85], v22, s[4:5] offset:2048
	;; [unrolled: 3-line block ×5, first 2 shown]
                                        ; kill: killed $vgpr20
                                        ; kill: killed $vgpr19
                                        ; kill: killed $vgpr15
                                        ; kill: killed $vgpr16
                                        ; kill: killed $vgpr61
                                        ; kill: killed $vgpr52
                                        ; kill: killed $vgpr60
                                        ; kill: killed $vgpr59
                                        ; kill: killed $vgpr21
                                        ; kill: killed $vgpr58
                                        ; kill: killed $vgpr53
                                        ; kill: killed $vgpr18
                                        ; kill: killed $vgpr24
                                        ; kill: killed $vgpr22
                                        ; kill: killed $vgpr17
	global_load_dwordx2 v[66:67], v76, s[4:5]
	s_nop 0
	global_load_dwordx2 v[58:59], v77, s[4:5]
	global_load_dwordx2 v[60:61], v109, s[4:5] offset:2048
	global_load_dwordx2 v[52:53], v110, s[4:5]
	global_load_dwordx4 v[13:16], v111, s[16:17] offset:272
	global_load_dwordx4 v[17:20], v111, s[16:17] offset:256
	;; [unrolled: 1-line block ×3, first 2 shown]
	s_cbranch_vccnz .LBB0_18
; %bb.17:
	v_mad_u64_u32 v[76:77], s[0:1], s12, v104, 0
	v_mad_u64_u32 v[109:110], s[0:1], s8, v102, 0
	s_waitcnt vmcnt(15)
	v_mad_u64_u32 v[111:112], s[0:1], s13, v104, v[77:78]
	v_mov_b32_e32 v77, v110
	v_mad_u64_u32 v[112:113], s[0:1], s9, v102, v[77:78]
	s_lshl_b64 s[0:1], s[6:7], 3
	s_add_u32 s4, s14, s0
	s_addc_u32 s0, s15, s1
	v_mov_b32_e32 v77, v111
	v_mov_b32_e32 v110, v112
	;; [unrolled: 1-line block ×3, first 2 shown]
	v_mad_u64_u32 v[111:112], s[0:1], s8, v0, 0
	v_lshlrev_b64 v[76:77], 3, v[76:77]
	v_lshlrev_b64 v[109:110], 3, v[109:110]
	v_add_co_u32_e32 v76, vcc, s4, v76
	v_addc_co_u32_e32 v77, vcc, v113, v77, vcc
	v_mad_u64_u32 v[112:113], s[0:1], s9, v0, v[112:113]
	v_add_co_u32_e32 v109, vcc, v76, v109
	v_addc_co_u32_e32 v110, vcc, v77, v110, vcc
	global_store_dwordx2 v[109:110], v[25:26], off
	v_lshlrev_b64 v[109:110], 3, v[111:112]
	v_mad_u64_u32 v[111:112], s[0:1], s8, v105, 0
	v_or_b32_e32 v115, 0x60, v102
	v_add_co_u32_e32 v109, vcc, v76, v109
	v_mad_u64_u32 v[112:113], s[0:1], s9, v105, v[112:113]
	v_mad_u64_u32 v[113:114], s[0:1], s8, v115, 0
	v_addc_co_u32_e32 v110, vcc, v77, v110, vcc
	global_store_dwordx2 v[109:110], v[27:28], off
	v_lshlrev_b64 v[109:110], 3, v[111:112]
	v_mov_b32_e32 v111, v114
	v_mad_u64_u32 v[111:112], s[0:1], s9, v115, v[111:112]
	v_add_co_u32_e32 v109, vcc, v76, v109
	v_mov_b32_e32 v114, v111
	v_mad_u64_u32 v[111:112], s[0:1], s8, v106, 0
	v_addc_co_u32_e32 v110, vcc, v77, v110, vcc
	global_store_dwordx2 v[109:110], v[29:30], off
	v_lshlrev_b64 v[109:110], 3, v[113:114]
	v_mad_u64_u32 v[112:113], s[0:1], s9, v106, v[112:113]
	v_add_co_u32_e32 v109, vcc, v76, v109
	v_mad_u64_u32 v[113:114], s[0:1], s8, v107, 0
	v_addc_co_u32_e32 v110, vcc, v77, v110, vcc
	global_store_dwordx2 v[109:110], v[31:32], off
	v_lshlrev_b64 v[109:110], 3, v[111:112]
	v_mov_b32_e32 v106, v114
	v_add_co_u32_e32 v109, vcc, v76, v109
	v_mad_u64_u32 v[106:107], s[0:1], s9, v107, v[106:107]
	v_addc_co_u32_e32 v110, vcc, v77, v110, vcc
	v_lshrrev_b32_e32 v111, 5, v39
	global_store_dwordx2 v[109:110], v[33:34], off
	v_mad_u64_u32 v[109:110], s[0:1], s8, v108, 0
	v_mad_u64_u32 v[111:112], s[0:1], v111, s18, v[39:40]
	v_mov_b32_e32 v114, v106
	v_lshlrev_b64 v[106:107], 3, v[113:114]
	v_mad_u64_u32 v[112:113], s[0:1], s9, v108, v[110:111]
	v_mad_u64_u32 v[113:114], s[0:1], s8, v111, 0
	v_add_co_u32_e32 v106, vcc, v76, v106
	v_addc_co_u32_e32 v107, vcc, v77, v107, vcc
	v_mov_b32_e32 v110, v112
	v_mov_b32_e32 v108, v114
	global_store_dwordx2 v[106:107], v[42:43], off
	v_lshlrev_b64 v[106:107], 3, v[109:110]
	v_mad_u64_u32 v[108:109], s[0:1], s9, v111, v[108:109]
	v_add_u32_e32 v110, 32, v111
	v_add_co_u32_e32 v106, vcc, v76, v106
	v_mov_b32_e32 v114, v108
	v_mad_u64_u32 v[108:109], s[0:1], s8, v110, 0
	v_addc_co_u32_e32 v107, vcc, v77, v107, vcc
	v_mad_u64_u32 v[109:110], s[0:1], s9, v110, v[109:110]
	v_add_u32_e32 v110, 64, v111
	global_store_dwordx2 v[106:107], v[44:45], off
	v_lshlrev_b64 v[106:107], 3, v[113:114]
	v_mad_u64_u32 v[112:113], s[0:1], s8, v110, 0
	v_add_co_u32_e32 v106, vcc, v76, v106
	v_addc_co_u32_e32 v107, vcc, v77, v107, vcc
	global_store_dwordx2 v[106:107], v[35:36], off
	v_lshlrev_b64 v[106:107], 3, v[108:109]
	v_mov_b32_e32 v108, v113
	v_mad_u64_u32 v[108:109], s[0:1], s9, v110, v[108:109]
	v_add_u32_e32 v110, 0x60, v111
	v_add_co_u32_e32 v106, vcc, v76, v106
	v_mov_b32_e32 v113, v108
	v_mad_u64_u32 v[108:109], s[0:1], s8, v110, 0
	v_addc_co_u32_e32 v107, vcc, v77, v107, vcc
	v_mad_u64_u32 v[109:110], s[0:1], s9, v110, v[109:110]
	v_add_u32_e32 v110, 0x80, v111
	global_store_dwordx2 v[106:107], v[50:51], off
	v_lshlrev_b64 v[106:107], 3, v[112:113]
	v_mad_u64_u32 v[112:113], s[0:1], s8, v110, 0
	v_add_co_u32_e32 v106, vcc, v76, v106
	v_addc_co_u32_e32 v107, vcc, v77, v107, vcc
	global_store_dwordx2 v[106:107], v[80:81], off
	v_lshlrev_b64 v[106:107], 3, v[108:109]
	v_mov_b32_e32 v108, v113
	v_mad_u64_u32 v[108:109], s[0:1], s9, v110, v[108:109]
	v_add_u32_e32 v110, 0xa0, v111
	v_add_co_u32_e32 v106, vcc, v76, v106
	v_mov_b32_e32 v113, v108
	v_mad_u64_u32 v[108:109], s[0:1], s8, v110, 0
	v_addc_co_u32_e32 v107, vcc, v77, v107, vcc
	global_store_dwordx2 v[106:107], v[86:87], off
	v_lshlrev_b64 v[106:107], 3, v[112:113]
	v_mad_u64_u32 v[109:110], s[0:1], s9, v110, v[109:110]
	v_add_u32_e32 v112, 0xc0, v111
	v_mad_u64_u32 v[110:111], s[0:1], s8, v112, 0
	v_add_co_u32_e32 v106, vcc, v76, v106
	v_addc_co_u32_e32 v107, vcc, v77, v107, vcc
	global_store_dwordx2 v[106:107], v[96:97], off
	v_lshlrev_b64 v[106:107], 3, v[108:109]
	v_mov_b32_e32 v108, v111
	v_mad_u64_u32 v[108:109], s[0:1], s9, v112, v[108:109]
	v_add_co_u32_e32 v106, vcc, v76, v106
	v_addc_co_u32_e32 v107, vcc, v77, v107, vcc
	v_mov_b32_e32 v111, v108
	global_store_dwordx2 v[106:107], v[98:99], off
	v_lshlrev_b64 v[106:107], 3, v[110:111]
	v_add_co_u32_e32 v106, vcc, v76, v106
	v_addc_co_u32_e32 v107, vcc, v77, v107, vcc
	s_and_b64 s[0:1], s[2:3], exec
	global_store_dwordx2 v[106:107], v[100:101], off
	s_cbranch_execz .LBB0_19
	s_branch .LBB0_22
.LBB0_18:
	s_mov_b64 s[0:1], 0
                                        ; implicit-def: $vgpr76_vgpr77
.LBB0_19:
	v_cmp_gt_u64_e32 vcc, s[10:11], v[37:38]
                                        ; implicit-def: $vgpr76_vgpr77
	s_and_saveexec_b64 s[4:5], vcc
	s_cbranch_execz .LBB0_21
; %bb.20:
	v_mad_u64_u32 v[37:38], s[10:11], s12, v104, 0
	v_mad_u64_u32 v[106:107], s[10:11], s8, v102, 0
	;; [unrolled: 1-line block ×3, first 2 shown]
	v_mov_b32_e32 v38, v107
	v_mad_u64_u32 v[107:108], s[10:11], s9, v102, v[38:39]
	v_mov_b32_e32 v38, v76
	s_lshl_b64 s[6:7], s[6:7], 3
	s_add_u32 s10, s14, s6
	v_lshlrev_b64 v[37:38], 3, v[37:38]
	s_addc_u32 s6, s15, s7
	v_mov_b32_e32 v77, s6
	v_add_co_u32_e32 v76, vcc, s10, v37
	v_mad_u64_u32 v[108:109], s[6:7], s8, v0, 0
	v_addc_co_u32_e32 v77, vcc, v77, v38, vcc
	v_lshlrev_b64 v[37:38], 3, v[106:107]
	v_mov_b32_e32 v104, v109
	v_add_co_u32_e32 v37, vcc, v76, v37
	v_addc_co_u32_e32 v38, vcc, v77, v38, vcc
	global_store_dwordx2 v[37:38], v[25:26], off
	v_mad_u64_u32 v[37:38], s[6:7], s8, v105, 0
	v_mad_u64_u32 v[106:107], s[6:7], s9, v0, v[104:105]
	v_mov_b32_e32 v0, v38
	v_mad_u64_u32 v[104:105], s[6:7], s9, v105, v[0:1]
	v_mov_b32_e32 v109, v106
	v_or_b32_e32 v107, 0x60, v102
	v_lshlrev_b64 v[25:26], 3, v[108:109]
	v_mad_u64_u32 v[105:106], s[6:7], s8, v107, 0
	v_add_co_u32_e32 v25, vcc, v76, v25
	v_addc_co_u32_e32 v26, vcc, v77, v26, vcc
	v_mov_b32_e32 v38, v104
	global_store_dwordx2 v[25:26], v[27:28], off
	v_lshlrev_b64 v[25:26], 3, v[37:38]
	v_mov_b32_e32 v0, v106
	v_mad_u64_u32 v[27:28], s[6:7], s9, v107, v[0:1]
	v_add_co_u32_e32 v25, vcc, v76, v25
	v_addc_co_u32_e32 v26, vcc, v77, v26, vcc
	global_store_dwordx2 v[25:26], v[29:30], off
	v_or_b32_e32 v29, 0x80, v102
	v_mov_b32_e32 v106, v27
	v_mad_u64_u32 v[27:28], s[6:7], s8, v29, 0
	v_or_b32_e32 v37, 0xa0, v102
	v_lshlrev_b64 v[25:26], 3, v[105:106]
	v_mov_b32_e32 v0, v28
	v_mad_u64_u32 v[28:29], s[6:7], s9, v29, v[0:1]
	v_mad_u64_u32 v[29:30], s[6:7], s8, v37, 0
	v_add_co_u32_e32 v25, vcc, v76, v25
	v_addc_co_u32_e32 v26, vcc, v77, v26, vcc
	v_mov_b32_e32 v0, v30
	global_store_dwordx2 v[25:26], v[31:32], off
	v_lshlrev_b64 v[25:26], 3, v[27:28]
	v_mad_u64_u32 v[27:28], s[6:7], s9, v37, v[0:1]
	v_or_b32_e32 v31, 0xc0, v102
	v_add_co_u32_e32 v25, vcc, v76, v25
	v_mov_b32_e32 v30, v27
	v_mad_u64_u32 v[27:28], s[6:7], s8, v31, 0
	v_addc_co_u32_e32 v26, vcc, v77, v26, vcc
	s_movk_i32 s6, 0xc0
	v_mov_b32_e32 v0, v28
	v_lshrrev_b32_e32 v28, 5, v39
	global_store_dwordx2 v[25:26], v[33:34], off
	v_lshlrev_b64 v[25:26], 3, v[29:30]
	v_mad_u64_u32 v[29:30], s[6:7], v28, s6, v[39:40]
	v_mad_u64_u32 v[30:31], s[6:7], s9, v31, v[0:1]
	;; [unrolled: 1-line block ×3, first 2 shown]
	v_add_co_u32_e32 v25, vcc, v76, v25
	v_addc_co_u32_e32 v26, vcc, v77, v26, vcc
	v_mov_b32_e32 v28, v30
	v_mov_b32_e32 v0, v32
	global_store_dwordx2 v[25:26], v[42:43], off
	v_lshlrev_b64 v[25:26], 3, v[27:28]
	v_mad_u64_u32 v[27:28], s[6:7], s9, v29, v[0:1]
	v_add_u32_e32 v30, 32, v29
	v_add_co_u32_e32 v25, vcc, v76, v25
	v_mov_b32_e32 v32, v27
	v_mad_u64_u32 v[27:28], s[6:7], s8, v30, 0
	v_addc_co_u32_e32 v26, vcc, v77, v26, vcc
	v_mov_b32_e32 v0, v28
	global_store_dwordx2 v[25:26], v[44:45], off
	v_lshlrev_b64 v[25:26], 3, v[31:32]
	v_mad_u64_u32 v[30:31], s[6:7], s9, v30, v[0:1]
	v_add_u32_e32 v33, 64, v29
	v_mad_u64_u32 v[31:32], s[6:7], s8, v33, 0
	v_add_co_u32_e32 v25, vcc, v76, v25
	v_addc_co_u32_e32 v26, vcc, v77, v26, vcc
	v_mov_b32_e32 v28, v30
	v_mov_b32_e32 v0, v32
	global_store_dwordx2 v[25:26], v[35:36], off
	v_lshlrev_b64 v[25:26], 3, v[27:28]
	v_mad_u64_u32 v[27:28], s[6:7], s9, v33, v[0:1]
	v_add_u32_e32 v30, 0x60, v29
	v_add_co_u32_e32 v25, vcc, v76, v25
	v_mov_b32_e32 v32, v27
	v_mad_u64_u32 v[27:28], s[6:7], s8, v30, 0
	v_addc_co_u32_e32 v26, vcc, v77, v26, vcc
	v_mov_b32_e32 v0, v28
	global_store_dwordx2 v[25:26], v[50:51], off
	v_lshlrev_b64 v[25:26], 3, v[31:32]
	v_mad_u64_u32 v[30:31], s[6:7], s9, v30, v[0:1]
	v_add_u32_e32 v33, 0x80, v29
	v_mad_u64_u32 v[31:32], s[6:7], s8, v33, 0
	;; [unrolled: 18-line block ×3, first 2 shown]
	v_add_co_u32_e32 v25, vcc, v76, v25
	v_addc_co_u32_e32 v26, vcc, v77, v26, vcc
	v_mov_b32_e32 v28, v30
	v_mov_b32_e32 v0, v32
	global_store_dwordx2 v[25:26], v[96:97], off
	v_lshlrev_b64 v[25:26], 3, v[27:28]
	v_mad_u64_u32 v[27:28], s[6:7], s9, v29, v[0:1]
	v_add_co_u32_e32 v25, vcc, v76, v25
	v_addc_co_u32_e32 v26, vcc, v77, v26, vcc
	v_mov_b32_e32 v32, v27
	global_store_dwordx2 v[25:26], v[98:99], off
	v_lshlrev_b64 v[25:26], 3, v[31:32]
	s_andn2_b64 s[0:1], s[0:1], exec
	v_add_co_u32_e32 v25, vcc, v76, v25
	s_and_b64 s[2:3], s[2:3], exec
	v_addc_co_u32_e32 v26, vcc, v77, v26, vcc
	s_or_b64 s[0:1], s[0:1], s[2:3]
	global_store_dwordx2 v[25:26], v[100:101], off
.LBB0_21:
	s_or_b64 exec, exec, s[4:5]
.LBB0_22:
	s_and_saveexec_b64 s[2:3], s[0:1]
	s_cbranch_execnz .LBB0_24
; %bb.23:
	s_endpgm
.LBB0_24:
	s_waitcnt vmcnt(0)
	v_mul_f32_e32 v0, v2, v22
	v_fmac_f32_e32 v0, v1, v21
	v_mul_f32_e32 v1, v1, v22
	v_fma_f32 v1, v2, v21, -v1
	v_mul_f32_e32 v2, v4, v24
	v_fmac_f32_e32 v2, v3, v23
	v_mul_f32_e32 v3, v3, v24
	v_fma_f32 v3, v4, v23, -v3
	;; [unrolled: 4-line block ×6, first 2 shown]
	v_add_f32_e32 v8, v0, v6
	v_sub_f32_e32 v0, v0, v6
	v_add_f32_e32 v6, v2, v12
	v_add_f32_e32 v13, v1, v7
	v_sub_f32_e32 v1, v1, v7
	v_add_f32_e32 v7, v3, v5
	v_sub_f32_e32 v3, v3, v5
	;; [unrolled: 2-line block ×6, first 2 shown]
	v_sub_f32_e32 v8, v8, v5
	v_sub_f32_e32 v6, v5, v6
	v_add_f32_e32 v5, v5, v10
	v_sub_f32_e32 v18, v4, v2
	v_sub_f32_e32 v19, v9, v3
	v_add_f32_e32 v10, v12, v11
	v_add_f32_e32 v11, v40, v5
	v_sub_f32_e32 v15, v7, v13
	v_sub_f32_e32 v13, v13, v12
	;; [unrolled: 1-line block ×3, first 2 shown]
	v_add_f32_e32 v16, v4, v2
	v_add_f32_e32 v17, v9, v3
	v_sub_f32_e32 v2, v2, v0
	v_sub_f32_e32 v3, v3, v1
	v_add_f32_e32 v12, v41, v10
	v_mul_f32_e32 v18, 0x3f08b237, v18
	v_mul_f32_e32 v19, 0x3f08b237, v19
	s_mov_b32 s0, 0xbf5ff5aa
	v_mov_b32_e32 v22, v11
	v_sub_f32_e32 v4, v0, v4
	v_sub_f32_e32 v9, v1, v9
	v_add_f32_e32 v0, v16, v0
	v_add_f32_e32 v1, v17, v1
	v_mul_f32_e32 v16, 0x3d64c772, v6
	v_mul_f32_e32 v17, 0x3d64c772, v7
	;; [unrolled: 1-line block ×4, first 2 shown]
	v_fmac_f32_e32 v22, 0xbf955555, v5
	v_mov_b32_e32 v5, v12
	s_mov_b32 s1, 0x3f3bfb3b
	v_fma_f32 v2, v2, s0, -v18
	v_fma_f32 v3, v3, s0, -v19
	s_mov_b32 s0, 0x3eae86e6
	v_mul_f32_e32 v8, 0x3f4a47b2, v8
	v_mul_f32_e32 v13, 0x3f4a47b2, v13
	v_fmac_f32_e32 v5, 0xbf955555, v10
	v_fma_f32 v10, v14, s1, -v16
	v_fma_f32 v16, v15, s1, -v17
	s_mov_b32 s1, 0xbf3bfb3b
	v_fmac_f32_e32 v18, 0xbeae86e6, v4
	v_fma_f32 v4, v4, s0, -v20
	v_fma_f32 v14, v14, s1, -v8
	v_fmac_f32_e32 v8, 0x3d64c772, v6
	v_fma_f32 v6, v15, s1, -v13
	v_fmac_f32_e32 v13, 0x3d64c772, v7
	v_fmac_f32_e32 v19, 0xbeae86e6, v9
	v_fma_f32 v7, v9, s0, -v21
	v_fmac_f32_e32 v18, 0xbee1c552, v0
	v_fmac_f32_e32 v2, 0xbee1c552, v0
	v_fmac_f32_e32 v4, 0xbee1c552, v0
	v_mul_f32_e32 v0, v47, v49
	v_add_f32_e32 v10, v10, v22
	v_fmac_f32_e32 v19, 0xbee1c552, v1
	v_fmac_f32_e32 v3, 0xbee1c552, v1
	;; [unrolled: 1-line block ×3, first 2 shown]
	v_fma_f32 v0, v46, v48, -v0
	v_mul_f32_e32 v1, v46, v49
	v_add_f32_e32 v9, v13, v5
	v_add_f32_e32 v13, v16, v5
	v_sub_f32_e32 v20, v10, v3
	v_add_f32_e32 v10, v3, v10
	v_fmac_f32_e32 v1, v47, v48
	v_mul_f32_e32 v3, v0, v95
	v_add_f32_e32 v21, v2, v13
	v_sub_f32_e32 v13, v13, v2
	v_mul_f32_e32 v2, v1, v95
	v_fmac_f32_e32 v3, v94, v1
	v_fma_f32 v2, v94, v0, -v2
	v_mul_f32_e32 v0, v12, v3
	v_mul_f32_e32 v1, v11, v3
	v_fmac_f32_e32 v0, v11, v2
	v_fma_f32 v1, v12, v2, -v1
	v_mul_f32_e32 v2, v91, v93
	v_add_f32_e32 v5, v6, v5
	v_fma_f32 v2, v90, v92, -v2
	v_mul_f32_e32 v3, v90, v93
	v_add_f32_e32 v8, v8, v22
	v_add_f32_e32 v14, v14, v22
	v_sub_f32_e32 v17, v5, v4
	v_add_f32_e32 v22, v4, v5
	v_fmac_f32_e32 v3, v91, v92
	v_mul_f32_e32 v5, v2, v89
	v_add_f32_e32 v6, v19, v8
	v_sub_f32_e32 v15, v9, v18
	v_mul_f32_e32 v4, v3, v89
	v_fmac_f32_e32 v5, v88, v3
	v_fma_f32 v4, v88, v2, -v4
	v_mul_f32_e32 v2, v15, v5
	v_mul_f32_e32 v3, v6, v5
	v_fmac_f32_e32 v2, v6, v4
	v_fma_f32 v3, v15, v4, -v3
	v_mul_f32_e32 v4, v83, v85
	v_fma_f32 v4, v82, v84, -v4
	v_mul_f32_e32 v5, v82, v85
	v_add_f32_e32 v16, v7, v14
	v_sub_f32_e32 v14, v14, v7
	v_fmac_f32_e32 v5, v83, v84
	v_mul_f32_e32 v7, v4, v79
	v_mul_f32_e32 v6, v5, v79
	v_fmac_f32_e32 v7, v78, v5
	v_fma_f32 v6, v78, v4, -v6
	v_mul_f32_e32 v4, v17, v7
	v_mul_f32_e32 v5, v16, v7
	v_fmac_f32_e32 v4, v16, v6
	v_fma_f32 v5, v17, v6, -v5
	v_mul_f32_e32 v6, v73, v75
	v_fma_f32 v6, v72, v74, -v6
	v_mul_f32_e32 v7, v72, v75
	v_add_f32_e32 v18, v18, v9
	v_fmac_f32_e32 v7, v73, v74
	v_mul_f32_e32 v9, v6, v71
	v_sub_f32_e32 v19, v8, v19
	v_mul_f32_e32 v8, v7, v71
	v_fmac_f32_e32 v9, v70, v7
	v_fma_f32 v8, v70, v6, -v8
	v_mul_f32_e32 v6, v21, v9
	v_mul_f32_e32 v7, v20, v9
	v_fmac_f32_e32 v6, v20, v8
	v_fma_f32 v7, v21, v8, -v7
	v_mul_f32_e32 v8, v65, v69
	v_fma_f32 v8, v64, v68, -v8
	v_mul_f32_e32 v9, v64, v69
	v_fmac_f32_e32 v9, v65, v68
	v_mul_f32_e32 v12, v8, v63
	v_mul_f32_e32 v11, v9, v63
	v_fmac_f32_e32 v12, v62, v9
	v_fma_f32 v11, v62, v8, -v11
	v_mul_f32_e32 v8, v13, v12
	v_fmac_f32_e32 v8, v10, v11
	v_mul_f32_e32 v9, v10, v12
	v_mul_f32_e32 v10, v55, v57
	v_fma_f32 v9, v13, v11, -v9
	v_fma_f32 v10, v54, v56, -v10
	v_mul_f32_e32 v11, v54, v57
	v_fmac_f32_e32 v11, v55, v56
	v_mul_f32_e32 v13, v10, v67
	v_mul_f32_e32 v12, v11, v67
	v_fmac_f32_e32 v13, v66, v11
	v_fma_f32 v12, v66, v10, -v12
	v_mul_f32_e32 v10, v22, v13
	v_mul_f32_e32 v11, v14, v13
	;; [unrolled: 1-line block ×3, first 2 shown]
	v_fmac_f32_e32 v10, v14, v12
	v_fma_f32 v11, v22, v12, -v11
	v_mul_f32_e32 v12, v59, v61
	v_fmac_f32_e32 v15, v59, v60
	v_fma_f32 v14, v58, v60, -v12
	v_mul_f32_e32 v12, v15, v53
	v_fma_f32 v20, v52, v14, -v12
	v_mad_u64_u32 v[12:13], s[0:1], s8, v103, 0
	v_mul_f32_e32 v21, v14, v53
	v_fmac_f32_e32 v21, v52, v15
	v_mul_f32_e32 v14, v18, v21
	v_mad_u64_u32 v[16:17], s[0:1], s9, v103, v[13:14]
	v_mul_f32_e32 v13, v19, v21
	v_fma_f32 v15, v18, v20, -v13
	v_add_u32_e32 v18, 60, v102
	v_mov_b32_e32 v13, v16
	v_mad_u64_u32 v[16:17], s[0:1], s8, v18, 0
	v_fmac_f32_e32 v14, v19, v20
	v_add_u32_e32 v20, 0x5c, v102
	v_mad_u64_u32 v[17:18], s[0:1], s9, v18, v[17:18]
	v_lshlrev_b64 v[12:13], 3, v[12:13]
	v_mad_u64_u32 v[18:19], s[0:1], s8, v20, 0
	v_add_co_u32_e32 v12, vcc, v76, v12
	v_addc_co_u32_e32 v13, vcc, v77, v13, vcc
	global_store_dwordx2 v[12:13], v[0:1], off
	v_mov_b32_e32 v12, v19
	v_mad_u64_u32 v[12:13], s[0:1], s9, v20, v[12:13]
	v_lshlrev_b64 v[0:1], 3, v[16:17]
	v_add_co_u32_e32 v0, vcc, v76, v0
	v_addc_co_u32_e32 v1, vcc, v77, v1, vcc
	v_mov_b32_e32 v19, v12
	v_add_u32_e32 v12, 0x7c, v102
	global_store_dwordx2 v[0:1], v[2:3], off
	v_mad_u64_u32 v[2:3], s[0:1], s8, v12, 0
	v_lshlrev_b64 v[0:1], 3, v[18:19]
	v_mad_u64_u32 v[12:13], s[0:1], s9, v12, v[3:4]
	v_add_u32_e32 v13, 0x9c, v102
	v_mad_u64_u32 v[16:17], s[0:1], s8, v13, 0
	v_add_co_u32_e32 v0, vcc, v76, v0
	v_addc_co_u32_e32 v1, vcc, v77, v1, vcc
	v_mov_b32_e32 v3, v12
	global_store_dwordx2 v[0:1], v[4:5], off
	v_lshlrev_b64 v[0:1], 3, v[2:3]
	v_mov_b32_e32 v2, v17
	v_mad_u64_u32 v[2:3], s[0:1], s9, v13, v[2:3]
	v_add_u32_e32 v4, 0xbc, v102
	v_add_co_u32_e32 v0, vcc, v76, v0
	v_mov_b32_e32 v17, v2
	v_mad_u64_u32 v[2:3], s[0:1], s8, v4, 0
	v_addc_co_u32_e32 v1, vcc, v77, v1, vcc
	global_store_dwordx2 v[0:1], v[6:7], off
	v_mad_u64_u32 v[3:4], s[0:1], s9, v4, v[3:4]
	v_add_u32_e32 v6, 0xdc, v102
	v_lshlrev_b64 v[0:1], 3, v[16:17]
	v_mad_u64_u32 v[4:5], s[0:1], s8, v6, 0
	v_add_co_u32_e32 v0, vcc, v76, v0
	v_addc_co_u32_e32 v1, vcc, v77, v1, vcc
	global_store_dwordx2 v[0:1], v[8:9], off
	v_lshlrev_b64 v[0:1], 3, v[2:3]
	v_mov_b32_e32 v2, v5
	v_mad_u64_u32 v[2:3], s[0:1], s9, v6, v[2:3]
	v_add_co_u32_e32 v0, vcc, v76, v0
	v_addc_co_u32_e32 v1, vcc, v77, v1, vcc
	v_mov_b32_e32 v5, v2
	global_store_dwordx2 v[0:1], v[10:11], off
	v_lshlrev_b64 v[0:1], 3, v[4:5]
	v_add_co_u32_e32 v0, vcc, v76, v0
	v_addc_co_u32_e32 v1, vcc, v77, v1, vcc
	global_store_dwordx2 v[0:1], v[14:15], off
	s_endpgm
	.section	.rodata,"a",@progbits
	.p2align	6, 0x0
	.amdhsa_kernel fft_rtc_back_len224_factors_2_2_2_4_7_wgs_196_tpt_14_dim3_sp_ip_CI_sbcc_twdbase8_3step_dirReg
		.amdhsa_group_segment_fixed_size 0
		.amdhsa_private_segment_fixed_size 0
		.amdhsa_kernarg_size 88
		.amdhsa_user_sgpr_count 6
		.amdhsa_user_sgpr_private_segment_buffer 1
		.amdhsa_user_sgpr_dispatch_ptr 0
		.amdhsa_user_sgpr_queue_ptr 0
		.amdhsa_user_sgpr_kernarg_segment_ptr 1
		.amdhsa_user_sgpr_dispatch_id 0
		.amdhsa_user_sgpr_flat_scratch_init 0
		.amdhsa_user_sgpr_private_segment_size 0
		.amdhsa_uses_dynamic_stack 0
		.amdhsa_system_sgpr_private_segment_wavefront_offset 0
		.amdhsa_system_sgpr_workgroup_id_x 1
		.amdhsa_system_sgpr_workgroup_id_y 0
		.amdhsa_system_sgpr_workgroup_id_z 0
		.amdhsa_system_sgpr_workgroup_info 0
		.amdhsa_system_vgpr_workitem_id 0
		.amdhsa_next_free_vgpr 116
		.amdhsa_next_free_sgpr 26
		.amdhsa_reserve_vcc 1
		.amdhsa_reserve_flat_scratch 0
		.amdhsa_float_round_mode_32 0
		.amdhsa_float_round_mode_16_64 0
		.amdhsa_float_denorm_mode_32 3
		.amdhsa_float_denorm_mode_16_64 3
		.amdhsa_dx10_clamp 1
		.amdhsa_ieee_mode 1
		.amdhsa_fp16_overflow 0
		.amdhsa_exception_fp_ieee_invalid_op 0
		.amdhsa_exception_fp_denorm_src 0
		.amdhsa_exception_fp_ieee_div_zero 0
		.amdhsa_exception_fp_ieee_overflow 0
		.amdhsa_exception_fp_ieee_underflow 0
		.amdhsa_exception_fp_ieee_inexact 0
		.amdhsa_exception_int_div_zero 0
	.end_amdhsa_kernel
	.text
.Lfunc_end0:
	.size	fft_rtc_back_len224_factors_2_2_2_4_7_wgs_196_tpt_14_dim3_sp_ip_CI_sbcc_twdbase8_3step_dirReg, .Lfunc_end0-fft_rtc_back_len224_factors_2_2_2_4_7_wgs_196_tpt_14_dim3_sp_ip_CI_sbcc_twdbase8_3step_dirReg
                                        ; -- End function
	.section	.AMDGPU.csdata,"",@progbits
; Kernel info:
; codeLenInByte = 13060
; NumSgprs: 30
; NumVgprs: 116
; ScratchSize: 0
; MemoryBound: 0
; FloatMode: 240
; IeeeMode: 1
; LDSByteSize: 0 bytes/workgroup (compile time only)
; SGPRBlocks: 3
; VGPRBlocks: 28
; NumSGPRsForWavesPerEU: 30
; NumVGPRsForWavesPerEU: 116
; Occupancy: 2
; WaveLimiterHint : 1
; COMPUTE_PGM_RSRC2:SCRATCH_EN: 0
; COMPUTE_PGM_RSRC2:USER_SGPR: 6
; COMPUTE_PGM_RSRC2:TRAP_HANDLER: 0
; COMPUTE_PGM_RSRC2:TGID_X_EN: 1
; COMPUTE_PGM_RSRC2:TGID_Y_EN: 0
; COMPUTE_PGM_RSRC2:TGID_Z_EN: 0
; COMPUTE_PGM_RSRC2:TIDIG_COMP_CNT: 0
	.type	__hip_cuid_b369a674a1c76f9f,@object ; @__hip_cuid_b369a674a1c76f9f
	.section	.bss,"aw",@nobits
	.globl	__hip_cuid_b369a674a1c76f9f
__hip_cuid_b369a674a1c76f9f:
	.byte	0                               ; 0x0
	.size	__hip_cuid_b369a674a1c76f9f, 1

	.ident	"AMD clang version 19.0.0git (https://github.com/RadeonOpenCompute/llvm-project roc-6.4.0 25133 c7fe45cf4b819c5991fe208aaa96edf142730f1d)"
	.section	".note.GNU-stack","",@progbits
	.addrsig
	.addrsig_sym __hip_cuid_b369a674a1c76f9f
	.amdgpu_metadata
---
amdhsa.kernels:
  - .args:
      - .actual_access:  read_only
        .address_space:  global
        .offset:         0
        .size:           8
        .value_kind:     global_buffer
      - .address_space:  global
        .offset:         8
        .size:           8
        .value_kind:     global_buffer
      - .actual_access:  read_only
        .address_space:  global
        .offset:         16
        .size:           8
        .value_kind:     global_buffer
      - .actual_access:  read_only
        .address_space:  global
        .offset:         24
        .size:           8
        .value_kind:     global_buffer
      - .offset:         32
        .size:           8
        .value_kind:     by_value
      - .actual_access:  read_only
        .address_space:  global
        .offset:         40
        .size:           8
        .value_kind:     global_buffer
      - .actual_access:  read_only
        .address_space:  global
        .offset:         48
        .size:           8
        .value_kind:     global_buffer
      - .offset:         56
        .size:           4
        .value_kind:     by_value
      - .actual_access:  read_only
        .address_space:  global
        .offset:         64
        .size:           8
        .value_kind:     global_buffer
      - .actual_access:  read_only
        .address_space:  global
        .offset:         72
        .size:           8
        .value_kind:     global_buffer
      - .address_space:  global
        .offset:         80
        .size:           8
        .value_kind:     global_buffer
    .group_segment_fixed_size: 0
    .kernarg_segment_align: 8
    .kernarg_segment_size: 88
    .language:       OpenCL C
    .language_version:
      - 2
      - 0
    .max_flat_workgroup_size: 196
    .name:           fft_rtc_back_len224_factors_2_2_2_4_7_wgs_196_tpt_14_dim3_sp_ip_CI_sbcc_twdbase8_3step_dirReg
    .private_segment_fixed_size: 0
    .sgpr_count:     30
    .sgpr_spill_count: 0
    .symbol:         fft_rtc_back_len224_factors_2_2_2_4_7_wgs_196_tpt_14_dim3_sp_ip_CI_sbcc_twdbase8_3step_dirReg.kd
    .uniform_work_group_size: 1
    .uses_dynamic_stack: false
    .vgpr_count:     116
    .vgpr_spill_count: 0
    .wavefront_size: 64
amdhsa.target:   amdgcn-amd-amdhsa--gfx906
amdhsa.version:
  - 1
  - 2
...

	.end_amdgpu_metadata
